;; amdgpu-corpus repo=ROCm/rocFFT kind=compiled arch=gfx906 opt=O3
	.text
	.amdgcn_target "amdgcn-amd-amdhsa--gfx906"
	.amdhsa_code_object_version 6
	.protected	bluestein_single_fwd_len1980_dim1_dp_op_CI_CI ; -- Begin function bluestein_single_fwd_len1980_dim1_dp_op_CI_CI
	.globl	bluestein_single_fwd_len1980_dim1_dp_op_CI_CI
	.p2align	8
	.type	bluestein_single_fwd_len1980_dim1_dp_op_CI_CI,@function
bluestein_single_fwd_len1980_dim1_dp_op_CI_CI: ; @bluestein_single_fwd_len1980_dim1_dp_op_CI_CI
; %bb.0:
	s_mov_b64 s[46:47], s[2:3]
	s_mov_b64 s[44:45], s[0:1]
	s_load_dwordx4 s[0:3], s[4:5], 0x28
	v_mul_u32_u24_e32 v1, 0x14b, v0
	v_add_u32_sdwa v199, s6, v1 dst_sel:DWORD dst_unused:UNUSED_PAD src0_sel:DWORD src1_sel:WORD_1
	v_mov_b32_e32 v200, 0
	s_add_u32 s44, s44, s7
	s_waitcnt lgkmcnt(0)
	v_cmp_gt_u64_e32 vcc, s[0:1], v[199:200]
	s_addc_u32 s45, s45, 0
	s_and_saveexec_b64 s[0:1], vcc
	s_cbranch_execz .LBB0_31
; %bb.1:
	s_load_dwordx2 s[14:15], s[4:5], 0x0
	s_load_dwordx2 s[12:13], s[4:5], 0x38
	s_movk_i32 s0, 0xc6
	v_mul_lo_u16_sdwa v1, v1, s0 dst_sel:DWORD dst_unused:UNUSED_PAD src0_sel:WORD_1 src1_sel:DWORD
	v_sub_u16_e32 v172, v0, v1
	s_movk_i32 s0, 0xb4
	v_cmp_gt_u16_e64 s[0:1], s0, v172
	v_lshlrev_b32_e32 v233, 4, v172
	s_and_saveexec_b64 s[6:7], s[0:1]
	s_cbranch_execz .LBB0_3
; %bb.2:
	s_load_dwordx2 s[8:9], s[4:5], 0x18
	s_waitcnt lgkmcnt(0)
	s_load_dwordx4 s[8:11], s[8:9], 0x0
	s_waitcnt lgkmcnt(0)
	v_mad_u64_u32 v[0:1], s[16:17], s10, v199, 0
	v_mad_u64_u32 v[2:3], s[16:17], s8, v172, 0
	;; [unrolled: 1-line block ×4, first 2 shown]
	v_mov_b32_e32 v1, v4
	v_lshlrev_b64 v[0:1], 4, v[0:1]
	v_mov_b32_e32 v3, v5
	v_mov_b32_e32 v6, s3
	v_lshlrev_b64 v[2:3], 4, v[2:3]
	v_add_co_u32_e32 v0, vcc, s2, v0
	v_addc_co_u32_e32 v1, vcc, v6, v1, vcc
	v_add_co_u32_e32 v16, vcc, v0, v2
	v_addc_co_u32_e32 v17, vcc, v1, v3, vcc
	v_mov_b32_e32 v0, s15
	v_add_co_u32_e32 v84, vcc, s14, v233
	s_mul_i32 s2, s9, 0xb40
	s_mul_hi_u32 s3, s8, 0xb40
	v_addc_co_u32_e32 v85, vcc, 0, v0, vcc
	s_add_i32 s2, s3, s2
	s_mul_i32 s3, s8, 0xb40
	v_mov_b32_e32 v4, s2
	v_add_co_u32_e32 v18, vcc, s3, v16
	v_addc_co_u32_e32 v19, vcc, v17, v4, vcc
	global_load_dwordx4 v[0:3], v233, s[14:15]
	global_load_dwordx4 v[4:7], v[16:17], off
	global_load_dwordx4 v[8:11], v[18:19], off
	global_load_dwordx4 v[12:15], v233, s[14:15] offset:2880
	v_mov_b32_e32 v16, s2
	v_add_co_u32_e32 v24, vcc, s3, v18
	v_addc_co_u32_e32 v25, vcc, v19, v16, vcc
	s_movk_i32 s8, 0x1000
	v_add_co_u32_e32 v20, vcc, s8, v84
	v_addc_co_u32_e32 v21, vcc, 0, v85, vcc
	v_mov_b32_e32 v26, s2
	v_add_co_u32_e32 v28, vcc, s3, v24
	v_addc_co_u32_e32 v29, vcc, v25, v26, vcc
	s_movk_i32 s8, 0x2000
	v_add_co_u32_e32 v40, vcc, s8, v84
	v_addc_co_u32_e32 v41, vcc, 0, v85, vcc
	v_mov_b32_e32 v30, s2
	v_add_co_u32_e32 v42, vcc, s3, v28
	global_load_dwordx4 v[16:19], v[24:25], off
	v_addc_co_u32_e32 v43, vcc, v29, v30, vcc
	global_load_dwordx4 v[20:23], v[20:21], off offset:1664
	v_add_co_u32_e32 v48, vcc, s3, v42
	global_load_dwordx4 v[24:27], v[28:29], off
	s_nop 0
	global_load_dwordx4 v[28:31], v[42:43], off
	global_load_dwordx4 v[32:35], v[40:41], off offset:448
	global_load_dwordx4 v[36:39], v[40:41], off offset:3328
	v_mov_b32_e32 v40, s2
	v_addc_co_u32_e32 v49, vcc, v43, v40, vcc
	s_movk_i32 s8, 0x3000
	v_add_co_u32_e32 v44, vcc, s8, v84
	v_addc_co_u32_e32 v45, vcc, 0, v85, vcc
	v_mov_b32_e32 v50, s2
	v_add_co_u32_e32 v52, vcc, s3, v48
	v_addc_co_u32_e32 v53, vcc, v49, v50, vcc
	s_movk_i32 s8, 0x4000
	v_add_co_u32_e32 v64, vcc, s8, v84
	v_addc_co_u32_e32 v65, vcc, 0, v85, vcc
	v_mov_b32_e32 v54, s2
	v_add_co_u32_e32 v66, vcc, s3, v52
	v_addc_co_u32_e32 v67, vcc, v53, v54, vcc
	global_load_dwordx4 v[40:43], v[48:49], off
	v_add_co_u32_e32 v72, vcc, s3, v66
	global_load_dwordx4 v[44:47], v[44:45], off offset:2112
	s_movk_i32 s8, 0x5000
	global_load_dwordx4 v[48:51], v[52:53], off
	s_nop 0
	global_load_dwordx4 v[52:55], v[66:67], off
	global_load_dwordx4 v[56:59], v[64:65], off offset:896
	global_load_dwordx4 v[60:63], v[64:65], off offset:3776
	v_mov_b32_e32 v64, s2
	v_addc_co_u32_e32 v73, vcc, v67, v64, vcc
	v_add_co_u32_e32 v68, vcc, s8, v84
	v_addc_co_u32_e32 v69, vcc, 0, v85, vcc
	v_mov_b32_e32 v74, s2
	v_add_co_u32_e32 v80, vcc, s3, v72
	v_addc_co_u32_e32 v81, vcc, v73, v74, vcc
	s_movk_i32 s8, 0x6000
	v_add_co_u32_e32 v76, vcc, s8, v84
	v_addc_co_u32_e32 v77, vcc, 0, v85, vcc
	global_load_dwordx4 v[64:67], v[72:73], off
	v_mov_b32_e32 v82, s2
	global_load_dwordx4 v[72:75], v[80:81], off
	v_add_co_u32_e32 v80, vcc, s3, v80
	v_addc_co_u32_e32 v81, vcc, v81, v82, vcc
	s_movk_i32 s2, 0x7000
	global_load_dwordx4 v[68:71], v[68:69], off offset:2560
	v_add_co_u32_e32 v84, vcc, s2, v84
	global_load_dwordx4 v[76:79], v[76:77], off offset:1344
	v_addc_co_u32_e32 v85, vcc, 0, v85, vcc
	global_load_dwordx4 v[80:83], v[80:81], off
	s_waitcnt vmcnt(19)
	v_mul_f64 v[88:89], v[6:7], v[2:3]
	global_load_dwordx4 v[84:87], v[84:85], off offset:128
	v_mul_f64 v[90:91], v[4:5], v[2:3]
	s_waitcnt vmcnt(18)
	v_mul_f64 v[92:93], v[10:11], v[14:15]
	v_mul_f64 v[14:15], v[8:9], v[14:15]
	v_fma_f64 v[2:3], v[4:5], v[0:1], v[88:89]
	v_fma_f64 v[4:5], v[6:7], v[0:1], -v[90:91]
	v_fma_f64 v[6:7], v[8:9], v[12:13], v[92:93]
	v_fma_f64 v[8:9], v[10:11], v[12:13], -v[14:15]
	s_waitcnt vmcnt(16)
	v_mul_f64 v[94:95], v[18:19], v[22:23]
	v_mul_f64 v[22:23], v[16:17], v[22:23]
	s_waitcnt vmcnt(13)
	v_mul_f64 v[0:1], v[26:27], v[34:35]
	v_fma_f64 v[10:11], v[16:17], v[20:21], v[94:95]
	v_fma_f64 v[12:13], v[18:19], v[20:21], -v[22:23]
	ds_write_b128 v233, v[2:5]
	ds_write_b128 v233, v[6:9] offset:2880
	ds_write_b128 v233, v[10:13] offset:5760
	v_mul_f64 v[2:3], v[24:25], v[34:35]
	s_waitcnt vmcnt(12)
	v_mul_f64 v[4:5], v[30:31], v[38:39]
	v_mul_f64 v[6:7], v[28:29], v[38:39]
	v_fma_f64 v[0:1], v[24:25], v[32:33], v[0:1]
	v_fma_f64 v[2:3], v[26:27], v[32:33], -v[2:3]
	v_fma_f64 v[4:5], v[28:29], v[36:37], v[4:5]
	v_fma_f64 v[6:7], v[30:31], v[36:37], -v[6:7]
	s_waitcnt vmcnt(10)
	v_mul_f64 v[8:9], v[42:43], v[46:47]
	v_mul_f64 v[10:11], v[40:41], v[46:47]
	s_waitcnt vmcnt(7)
	v_mul_f64 v[12:13], v[50:51], v[58:59]
	v_mul_f64 v[14:15], v[48:49], v[58:59]
	;; [unrolled: 3-line block ×3, first 2 shown]
	v_fma_f64 v[8:9], v[40:41], v[44:45], v[8:9]
	v_fma_f64 v[10:11], v[42:43], v[44:45], -v[10:11]
	v_fma_f64 v[12:13], v[48:49], v[56:57], v[12:13]
	v_fma_f64 v[14:15], v[50:51], v[56:57], -v[14:15]
	;; [unrolled: 2-line block ×3, first 2 shown]
	s_waitcnt vmcnt(3)
	v_mul_f64 v[20:21], v[66:67], v[70:71]
	v_mul_f64 v[22:23], v[64:65], v[70:71]
	s_waitcnt vmcnt(2)
	v_mul_f64 v[24:25], v[74:75], v[78:79]
	v_mul_f64 v[26:27], v[72:73], v[78:79]
	;; [unrolled: 3-line block ×3, first 2 shown]
	v_fma_f64 v[20:21], v[64:65], v[68:69], v[20:21]
	v_fma_f64 v[22:23], v[66:67], v[68:69], -v[22:23]
	v_fma_f64 v[24:25], v[72:73], v[76:77], v[24:25]
	v_fma_f64 v[26:27], v[74:75], v[76:77], -v[26:27]
	;; [unrolled: 2-line block ×3, first 2 shown]
	ds_write_b128 v233, v[0:3] offset:8640
	ds_write_b128 v233, v[4:7] offset:11520
	;; [unrolled: 1-line block ×8, first 2 shown]
.LBB0_3:
	s_or_b64 exec, exec, s[6:7]
	s_load_dwordx2 s[2:3], s[4:5], 0x20
	s_load_dwordx2 s[8:9], s[4:5], 0x8
	s_waitcnt lgkmcnt(0)
	s_barrier
	s_waitcnt lgkmcnt(0)
                                        ; implicit-def: $vgpr0_vgpr1
                                        ; implicit-def: $vgpr40_vgpr41
                                        ; implicit-def: $vgpr44_vgpr45
                                        ; implicit-def: $vgpr24_vgpr25
                                        ; implicit-def: $vgpr32_vgpr33
                                        ; implicit-def: $vgpr36_vgpr37
                                        ; implicit-def: $vgpr20_vgpr21
                                        ; implicit-def: $vgpr4_vgpr5
                                        ; implicit-def: $vgpr8_vgpr9
                                        ; implicit-def: $vgpr12_vgpr13
                                        ; implicit-def: $vgpr16_vgpr17
	s_and_saveexec_b64 s[4:5], s[0:1]
	s_cbranch_execz .LBB0_5
; %bb.4:
	ds_read_b128 v[0:3], v233
	ds_read_b128 v[40:43], v233 offset:2880
	ds_read_b128 v[44:47], v233 offset:5760
	;; [unrolled: 1-line block ×10, first 2 shown]
.LBB0_5:
	s_or_b64 exec, exec, s[4:5]
	s_waitcnt lgkmcnt(0)
	v_add_f64 v[90:91], v[42:43], -v[18:19]
	v_add_f64 v[86:87], v[40:41], -v[16:17]
	s_mov_b32 s6, 0xf8bb580b
	s_mov_b32 s7, 0xbfe14ced
	v_add_f64 v[54:55], v[40:41], v[16:17]
	v_add_f64 v[62:63], v[42:43], v[18:19]
	v_add_f64 v[98:99], v[46:47], -v[14:15]
	v_add_f64 v[94:95], v[44:45], -v[12:13]
	v_mul_f64 v[52:53], v[90:91], s[6:7]
	v_mul_f64 v[56:57], v[86:87], s[6:7]
	s_mov_b32 s4, 0x8764f0ba
	s_mov_b32 s28, 0x8eee2c13
	;; [unrolled: 1-line block ×4, first 2 shown]
	v_add_f64 v[48:49], v[44:45], v[12:13]
	v_add_f64 v[68:69], v[46:47], v[14:15]
	v_fma_f64 v[28:29], v[54:55], s[4:5], v[52:53]
	v_fma_f64 v[30:31], v[62:63], s[4:5], -v[56:57]
	v_mul_f64 v[50:51], v[98:99], s[28:29]
	v_mul_f64 v[58:59], v[94:95], s[28:29]
	v_add_f64 v[100:101], v[26:27], -v[10:11]
	v_add_f64 v[102:103], v[24:25], -v[8:9]
	s_mov_b32 s18, 0xd9c712b6
	s_mov_b32 s26, 0x43842ef
	s_mov_b32 s19, 0x3fda9628
	s_mov_b32 s27, 0xbfefac9e
	v_add_f64 v[28:29], v[0:1], v[28:29]
	v_add_f64 v[30:31], v[2:3], v[30:31]
	v_fma_f64 v[70:71], v[48:49], s[18:19], v[50:51]
	v_fma_f64 v[74:75], v[68:69], s[18:19], -v[58:59]
	v_add_f64 v[60:61], v[24:25], v[8:9]
	v_add_f64 v[72:73], v[26:27], v[10:11]
	v_mul_f64 v[64:65], v[100:101], s[26:27]
	v_mul_f64 v[66:67], v[102:103], s[26:27]
	v_add_f64 v[80:81], v[34:35], -v[6:7]
	v_add_f64 v[106:107], v[32:33], -v[4:5]
	s_mov_b32 s16, 0x640f44db
	s_mov_b32 s20, 0xbb3a28a1
	s_mov_b32 s17, 0xbfc2375f
	s_mov_b32 s21, 0xbfe82f19
	v_add_f64 v[28:29], v[70:71], v[28:29]
	v_add_f64 v[30:31], v[74:75], v[30:31]
	v_fma_f64 v[78:79], v[60:61], s[16:17], v[64:65]
	v_fma_f64 v[84:85], v[72:73], s[16:17], -v[66:67]
	v_add_f64 v[70:71], v[32:33], v[4:5]
	v_add_f64 v[82:83], v[34:35], v[6:7]
	;; [unrolled: 14-line block ×3, first 2 shown]
	v_mul_f64 v[84:85], v[92:93], s[30:31]
	v_mul_f64 v[88:89], v[104:105], s[30:31]
	s_mov_b32 s24, 0x9bcd5057
	s_mov_b32 s25, 0xbfeeb42a
	v_add_f64 v[28:29], v[108:109], v[28:29]
	v_add_f64 v[30:31], v[110:111], v[30:31]
	v_mul_lo_u16_e32 v201, 11, v172
	v_fma_f64 v[108:109], v[78:79], s[24:25], v[84:85]
	v_fma_f64 v[110:111], v[96:97], s[24:25], -v[88:89]
	s_barrier
	v_add_f64 v[28:29], v[108:109], v[28:29]
	v_add_f64 v[30:31], v[110:111], v[30:31]
	s_and_saveexec_b64 s[10:11], s[0:1]
	s_cbranch_execz .LBB0_7
; %bb.6:
	v_mul_f64 v[108:109], v[62:63], s[24:25]
	s_mov_b32 s39, 0x3fd207e7
	s_mov_b32 s38, s30
	v_mul_f64 v[110:111], v[90:91], s[30:31]
	v_mul_f64 v[112:113], v[68:69], s[4:5]
	s_mov_b32 s35, 0x3fe14ced
	s_mov_b32 s34, s6
	v_mul_f64 v[114:115], v[98:99], s[34:35]
	v_fma_f64 v[116:117], v[86:87], s[38:39], v[108:109]
	v_mul_f64 v[120:121], v[72:73], s[22:23]
	s_mov_b32 s37, 0x3fe82f19
	v_fma_f64 v[118:119], v[54:55], s[24:25], v[110:111]
	v_fma_f64 v[124:125], v[94:95], s[6:7], v[112:113]
	s_mov_b32 s36, s20
	v_mul_f64 v[122:123], v[100:101], s[20:21]
	v_fma_f64 v[126:127], v[48:49], s[4:5], v[114:115]
	v_add_f64 v[116:117], v[2:3], v[116:117]
	v_mul_f64 v[128:129], v[82:83], s[18:19]
	v_fma_f64 v[130:131], v[102:103], s[36:37], v[120:121]
	v_add_f64 v[118:119], v[0:1], v[118:119]
	v_fma_f64 v[108:109], v[86:87], s[30:31], v[108:109]
	v_fma_f64 v[110:111], v[54:55], s[24:25], -v[110:111]
	s_mov_b32 s43, 0x3fed1bb4
	s_mov_b32 s42, s28
	v_add_f64 v[116:117], v[124:125], v[116:117]
	v_fma_f64 v[132:133], v[60:61], s[22:23], v[122:123]
	v_mul_f64 v[124:125], v[80:81], s[42:43]
	v_add_f64 v[118:119], v[126:127], v[118:119]
	v_fma_f64 v[112:113], v[94:95], s[34:35], v[112:113]
	v_add_f64 v[108:109], v[2:3], v[108:109]
	v_fma_f64 v[114:115], v[48:49], s[4:5], -v[114:115]
	v_add_f64 v[110:111], v[0:1], v[110:111]
	v_fma_f64 v[126:127], v[106:107], s[28:29], v[128:129]
	v_add_f64 v[116:117], v[130:131], v[116:117]
	v_mul_f64 v[130:131], v[96:97], s[16:17]
	v_fma_f64 v[120:121], v[102:103], s[20:21], v[120:121]
	v_fma_f64 v[134:135], v[70:71], s[18:19], v[124:125]
	v_add_f64 v[108:109], v[112:113], v[108:109]
	v_add_f64 v[112:113], v[132:133], v[118:119]
	;; [unrolled: 1-line block ×3, first 2 shown]
	s_mov_b32 s41, 0x3fefac9e
	v_add_f64 v[114:115], v[126:127], v[116:117]
	v_fma_f64 v[116:117], v[60:61], s[22:23], -v[122:123]
	v_mul_f64 v[122:123], v[62:63], s[22:23]
	s_mov_b32 s40, s26
	v_fma_f64 v[118:119], v[104:105], s[40:41], v[130:131]
	v_mul_f64 v[126:127], v[92:93], s[26:27]
	v_add_f64 v[108:109], v[120:121], v[108:109]
	v_fma_f64 v[120:121], v[106:107], s[42:43], v[128:129]
	v_fma_f64 v[124:125], v[70:71], s[18:19], -v[124:125]
	v_add_f64 v[116:117], v[116:117], v[110:111]
	v_mul_f64 v[128:129], v[90:91], s[20:21]
	v_add_f64 v[112:113], v[134:135], v[112:113]
	v_fma_f64 v[132:133], v[86:87], s[36:37], v[122:123]
	v_mul_f64 v[134:135], v[68:69], s[16:17]
	v_add_f64 v[110:111], v[118:119], v[114:115]
	v_fma_f64 v[114:115], v[78:79], s[16:17], v[126:127]
	v_add_f64 v[118:119], v[120:121], v[108:109]
	v_add_f64 v[116:117], v[124:125], v[116:117]
	v_fma_f64 v[120:121], v[54:55], s[22:23], v[128:129]
	v_mul_f64 v[124:125], v[98:99], s[40:41]
	v_add_f64 v[132:133], v[2:3], v[132:133]
	v_fma_f64 v[136:137], v[94:95], s[26:27], v[134:135]
	v_mul_f64 v[138:139], v[72:73], s[4:5]
	v_fma_f64 v[130:131], v[104:105], s[26:27], v[130:131]
	v_fma_f64 v[126:127], v[78:79], s[16:17], -v[126:127]
	v_add_f64 v[108:109], v[114:115], v[112:113]
	v_add_f64 v[120:121], v[0:1], v[120:121]
	v_fma_f64 v[140:141], v[48:49], s[16:17], v[124:125]
	v_mul_f64 v[142:143], v[100:101], s[6:7]
	v_add_f64 v[132:133], v[136:137], v[132:133]
	v_fma_f64 v[136:137], v[102:103], s[34:35], v[138:139]
	v_add_f64 v[114:115], v[130:131], v[118:119]
	v_fma_f64 v[118:119], v[86:87], s[20:21], v[122:123]
	v_add_f64 v[112:113], v[126:127], v[116:117]
	v_mul_f64 v[116:117], v[82:83], s[24:25]
	v_add_f64 v[120:121], v[140:141], v[120:121]
	v_fma_f64 v[122:123], v[60:61], s[4:5], v[142:143]
	v_fma_f64 v[128:129], v[54:55], s[22:23], -v[128:129]
	v_add_f64 v[126:127], v[136:137], v[132:133]
	v_mul_f64 v[130:131], v[80:81], s[30:31]
	v_fma_f64 v[132:133], v[94:95], s[40:41], v[134:135]
	v_add_f64 v[118:119], v[2:3], v[118:119]
	v_fma_f64 v[134:135], v[106:107], s[38:39], v[116:117]
	v_fma_f64 v[124:125], v[48:49], s[16:17], -v[124:125]
	v_add_f64 v[120:121], v[122:123], v[120:121]
	v_mul_f64 v[122:123], v[96:97], s[18:19]
	v_add_f64 v[128:129], v[0:1], v[128:129]
	v_fma_f64 v[136:137], v[70:71], s[24:25], v[130:131]
	v_mul_f64 v[140:141], v[92:93], s[42:43]
	v_add_f64 v[118:119], v[132:133], v[118:119]
	v_fma_f64 v[132:133], v[102:103], s[6:7], v[138:139]
	v_add_f64 v[42:43], v[2:3], v[42:43]
	v_add_f64 v[40:41], v[0:1], v[40:41]
	;; [unrolled: 1-line block ×3, first 2 shown]
	v_fma_f64 v[134:135], v[104:105], s[28:29], v[122:123]
	v_add_f64 v[124:125], v[124:125], v[128:129]
	v_fma_f64 v[128:129], v[60:61], s[4:5], -v[142:143]
	v_add_f64 v[120:121], v[136:137], v[120:121]
	v_fma_f64 v[136:137], v[78:79], s[18:19], v[140:141]
	v_add_f64 v[118:119], v[132:133], v[118:119]
	v_fma_f64 v[116:117], v[106:107], s[30:31], v[116:117]
	v_add_f64 v[46:47], v[42:43], v[46:47]
	v_add_f64 v[44:45], v[40:41], v[44:45]
	;; [unrolled: 1-line block ×4, first 2 shown]
	v_fma_f64 v[126:127], v[70:71], s[24:25], -v[130:131]
	v_add_f64 v[40:41], v[136:137], v[120:121]
	v_mul_f64 v[120:121], v[62:63], s[16:17]
	v_add_f64 v[116:117], v[116:117], v[118:119]
	v_fma_f64 v[118:119], v[104:105], s[42:43], v[122:123]
	v_mul_f64 v[122:123], v[90:91], s[26:27]
	v_add_f64 v[46:47], v[46:47], v[26:27]
	v_add_f64 v[24:25], v[44:45], v[24:25]
	v_add_f64 v[44:45], v[126:127], v[124:125]
	v_mul_f64 v[124:125], v[68:69], s[24:25]
	v_fma_f64 v[126:127], v[86:87], s[40:41], v[120:121]
	v_fma_f64 v[128:129], v[78:79], s[18:19], -v[140:141]
	v_add_f64 v[26:27], v[118:119], v[116:117]
	v_fma_f64 v[116:117], v[54:55], s[16:17], v[122:123]
	v_mul_f64 v[118:119], v[98:99], s[38:39]
	v_add_f64 v[34:35], v[46:47], v[34:35]
	v_add_f64 v[32:33], v[24:25], v[32:33]
	v_fma_f64 v[46:47], v[94:95], s[30:31], v[124:125]
	v_add_f64 v[126:127], v[2:3], v[126:127]
	v_mul_f64 v[130:131], v[72:73], s[18:19]
	v_add_f64 v[24:25], v[128:129], v[44:45]
	v_add_f64 v[44:45], v[0:1], v[116:117]
	v_fma_f64 v[116:117], v[48:49], s[24:25], v[118:119]
	v_mul_f64 v[128:129], v[100:101], s[42:43]
	v_add_f64 v[34:35], v[34:35], v[38:39]
	v_add_f64 v[32:33], v[32:33], v[36:37]
	;; [unrolled: 1-line block ×3, first 2 shown]
	v_fma_f64 v[38:39], v[102:103], s[28:29], v[130:131]
	v_fma_f64 v[46:47], v[86:87], s[26:27], v[120:121]
	v_mul_f64 v[120:121], v[82:83], s[4:5]
	v_add_f64 v[44:45], v[116:117], v[44:45]
	v_fma_f64 v[116:117], v[60:61], s[18:19], v[128:129]
	v_mul_f64 v[126:127], v[80:81], s[6:7]
	v_add_f64 v[22:23], v[34:35], v[22:23]
	v_fma_f64 v[34:35], v[94:95], s[38:39], v[124:125]
	v_fma_f64 v[122:123], v[54:55], s[16:17], -v[122:123]
	v_add_f64 v[46:47], v[2:3], v[46:47]
	v_add_f64 v[36:37], v[38:39], v[36:37]
	v_fma_f64 v[38:39], v[106:107], s[34:35], v[120:121]
	v_add_f64 v[44:45], v[116:117], v[44:45]
	v_fma_f64 v[116:117], v[70:71], s[4:5], v[126:127]
	v_mul_f64 v[124:125], v[62:63], s[18:19]
	v_fma_f64 v[118:119], v[48:49], s[24:25], -v[118:119]
	v_add_f64 v[122:123], v[0:1], v[122:123]
	v_add_f64 v[34:35], v[34:35], v[46:47]
	v_fma_f64 v[46:47], v[102:103], s[42:43], v[130:131]
	v_add_f64 v[32:33], v[32:33], v[20:21]
	v_add_f64 v[20:21], v[38:39], v[36:37]
	;; [unrolled: 1-line block ×3, first 2 shown]
	v_fma_f64 v[38:39], v[86:87], s[42:43], v[124:125]
	v_mul_f64 v[44:45], v[68:69], s[22:23]
	v_add_f64 v[116:117], v[118:119], v[122:123]
	v_fma_f64 v[118:119], v[60:61], s[18:19], -v[128:129]
	v_add_f64 v[34:35], v[46:47], v[34:35]
	v_mul_f64 v[46:47], v[90:91], s[28:29]
	v_fma_f64 v[90:91], v[106:107], s[6:7], v[120:121]
	v_fma_f64 v[86:87], v[86:87], s[28:29], v[124:125]
	v_add_f64 v[38:39], v[2:3], v[38:39]
	v_fma_f64 v[120:121], v[94:95], s[36:37], v[44:45]
	v_mul_f64 v[122:123], v[72:73], s[24:25]
	v_add_f64 v[116:117], v[118:119], v[116:117]
	v_mul_f64 v[98:99], v[98:99], s[20:21]
	v_fma_f64 v[118:119], v[54:55], s[18:19], v[46:47]
	v_fma_f64 v[44:45], v[94:95], s[20:21], v[44:45]
	v_add_f64 v[86:87], v[2:3], v[86:87]
	v_fma_f64 v[124:125], v[70:71], s[4:5], -v[126:127]
	v_add_f64 v[38:39], v[120:121], v[38:39]
	v_fma_f64 v[94:95], v[102:103], s[30:31], v[122:123]
	v_mul_f64 v[120:121], v[82:83], s[16:17]
	v_fma_f64 v[126:127], v[48:49], s[22:23], v[98:99]
	v_add_f64 v[118:119], v[0:1], v[118:119]
	v_fma_f64 v[102:103], v[102:103], s[38:39], v[122:123]
	v_add_f64 v[44:45], v[44:45], v[86:87]
	v_mul_f64 v[62:63], v[62:63], s[4:5]
	v_fma_f64 v[46:47], v[54:55], s[18:19], -v[46:47]
	v_add_f64 v[38:39], v[94:95], v[38:39]
	v_fma_f64 v[86:87], v[106:107], s[26:27], v[120:121]
	v_fma_f64 v[106:107], v[106:107], s[40:41], v[120:121]
	v_add_f64 v[94:95], v[126:127], v[118:119]
	v_mul_f64 v[118:119], v[96:97], s[4:5]
	v_add_f64 v[44:45], v[102:103], v[44:45]
	v_mul_f64 v[102:103], v[96:97], s[22:23]
	;; [unrolled: 2-line block ×4, first 2 shown]
	v_mul_f64 v[54:55], v[68:69], s[18:19]
	v_mul_f64 v[100:101], v[100:101], s[38:39]
	v_add_f64 v[44:45], v[106:107], v[44:45]
	v_fma_f64 v[62:63], v[104:105], s[36:37], v[102:103]
	v_fma_f64 v[68:69], v[104:105], s[20:21], v[102:103]
	;; [unrolled: 1-line block ×3, first 2 shown]
	v_mul_f64 v[106:107], v[60:61], s[16:17]
	v_add_f64 v[52:53], v[86:87], -v[52:53]
	v_fma_f64 v[86:87], v[104:105], s[6:7], v[118:119]
	v_mul_f64 v[104:105], v[48:49], s[18:19]
	v_add_f64 v[56:57], v[2:3], v[56:57]
	v_add_f64 v[54:55], v[58:59], v[54:55]
	v_fma_f64 v[48:49], v[48:49], s[22:23], -v[98:99]
	v_add_f64 v[6:7], v[22:23], v[6:7]
	v_add_f64 v[4:5], v[32:33], v[4:5]
	;; [unrolled: 1-line block ×4, first 2 shown]
	v_add_f64 v[50:51], v[104:105], -v[50:51]
	v_mul_f64 v[46:47], v[70:71], s[22:23]
	v_mul_f64 v[58:59], v[82:83], s[22:23]
	v_add_f64 v[66:67], v[66:67], v[72:73]
	v_add_f64 v[54:55], v[54:55], v[56:57]
	v_add_f64 v[56:57], v[106:107], -v[64:65]
	v_add_f64 v[34:35], v[90:91], v[34:35]
	v_add_f64 v[90:91], v[124:125], v[116:117]
	;; [unrolled: 1-line block ×3, first 2 shown]
	v_fma_f64 v[116:117], v[60:61], s[24:25], v[100:101]
	v_mul_f64 v[80:81], v[80:81], s[40:41]
	v_fma_f64 v[60:61], v[60:61], s[24:25], -v[100:101]
	v_add_f64 v[0:1], v[48:49], v[0:1]
	v_add_f64 v[6:7], v[6:7], v[10:11]
	v_add_f64 v[4:5], v[4:5], v[8:9]
	v_mul_f64 v[82:83], v[78:79], s[24:25]
	v_mul_f64 v[96:97], v[96:97], s[24:25]
	v_add_f64 v[48:49], v[76:77], v[58:59]
	v_add_f64 v[50:51], v[66:67], v[54:55]
	v_add_f64 v[46:47], v[46:47], -v[74:75]
	v_add_f64 v[8:9], v[56:57], v[22:23]
	v_add_f64 v[2:3], v[62:63], v[20:21]
	;; [unrolled: 1-line block ×3, first 2 shown]
	v_mul_f64 v[68:69], v[92:93], s[34:35]
	v_fma_f64 v[32:33], v[70:71], s[16:17], -v[80:81]
	v_add_f64 v[0:1], v[60:61], v[0:1]
	v_add_f64 v[94:95], v[116:117], v[94:95]
	v_mul_f64 v[116:117], v[92:93], s[20:21]
	v_fma_f64 v[92:93], v[70:71], s[16:17], v[80:81]
	v_add_f64 v[14:15], v[6:7], v[14:15]
	v_add_f64 v[4:5], v[4:5], v[12:13]
	;; [unrolled: 1-line block ×4, first 2 shown]
	v_add_f64 v[50:51], v[82:83], -v[84:85]
	v_add_f64 v[8:9], v[46:47], v[8:9]
	v_fma_f64 v[22:23], v[78:79], s[4:5], -v[68:69]
	v_add_f64 v[0:1], v[32:33], v[0:1]
	v_fma_f64 v[34:35], v[78:79], s[22:23], -v[116:117]
	v_fma_f64 v[62:63], v[78:79], s[22:23], v[116:117]
	v_fma_f64 v[32:33], v[78:79], s[4:5], v[68:69]
	v_add_f64 v[46:47], v[92:93], v[94:95]
	v_add_f64 v[14:15], v[14:15], v[18:19]
	;; [unrolled: 1-line block ×8, first 2 shown]
	v_lshlrev_b32_e32 v16, 4, v201
	v_add_f64 v[0:1], v[62:63], v[36:37]
	v_add_f64 v[34:35], v[86:87], v[38:39]
	;; [unrolled: 1-line block ×3, first 2 shown]
	ds_write_b128 v16, v[12:15]
	ds_write_b128 v16, v[8:11] offset:16
	ds_write_b128 v16, v[4:7] offset:32
	;; [unrolled: 1-line block ×10, first 2 shown]
.LBB0_7:
	s_or_b64 exec, exec, s[10:11]
	s_load_dwordx4 s[4:7], s[2:3], 0x0
	s_movk_i32 s2, 0xc6
	v_add_co_u32_e32 v133, vcc, s2, v172
	s_movk_i32 s2, 0x18c
	v_add_co_u32_e32 v132, vcc, s2, v172
	;; [unrolled: 2-line block ×3, first 2 shown]
	s_movk_i32 s2, 0x75
	v_mul_lo_u16_sdwa v0, v172, s2 dst_sel:DWORD dst_unused:UNUSED_PAD src0_sel:BYTE_0 src1_sel:DWORD
	v_sub_u16_sdwa v1, v172, v0 dst_sel:DWORD dst_unused:UNUSED_PAD src0_sel:DWORD src1_sel:BYTE_1
	v_lshrrev_b16_e32 v1, 1, v1
	v_and_b32_e32 v1, 0x7f, v1
	v_add_u16_sdwa v0, v1, v0 dst_sel:DWORD dst_unused:UNUSED_PAD src0_sel:DWORD src1_sel:BYTE_1
	v_lshrrev_b16_e32 v25, 3, v0
	s_mov_b32 s2, 0xba2f
	v_mul_lo_u16_e32 v0, 11, v25
	v_mul_u32_u24_sdwa v32, v132, s2 dst_sel:DWORD dst_unused:UNUSED_PAD src0_sel:WORD_0 src1_sel:DWORD
	v_add_u16_e32 v134, 0x252, v172
	v_sub_u16_e32 v0, v172, v0
	v_lshrrev_b32_e32 v37, 19, v32
	v_mul_u32_u24_e32 v44, 0xba2f, v134
	v_and_b32_e32 v26, 0xff, v0
	v_mul_lo_u16_e32 v0, 11, v37
	v_lshrrev_b32_e32 v39, 19, v44
	v_sub_u16_e32 v38, v132, v0
	v_mul_lo_u16_e32 v0, 11, v39
	v_lshlrev_b32_e32 v9, 4, v38
	v_sub_u16_e32 v73, v134, v0
	s_waitcnt lgkmcnt(0)
	s_barrier
	v_lshlrev_b32_e32 v10, 4, v73
	global_load_dwordx4 v[4:7], v9, s[8:9]
	global_load_dwordx4 v[0:3], v10, s[8:9]
	v_mul_u32_u24_sdwa v9, v8, s2 dst_sel:DWORD dst_unused:UNUSED_PAD src0_sel:WORD_0 src1_sel:DWORD
	v_mul_u32_u24_sdwa v20, v133, s2 dst_sel:DWORD dst_unused:UNUSED_PAD src0_sel:WORD_0 src1_sel:DWORD
	v_lshrrev_b32_e32 v74, 19, v9
	v_lshrrev_b32_e32 v27, 19, v20
	v_mul_lo_u16_e32 v9, 11, v74
	v_mul_lo_u16_e32 v13, 11, v27
	v_sub_u16_e32 v75, v8, v9
	v_lshlrev_b32_e32 v12, 4, v26
	v_lshlrev_b32_e32 v8, 4, v75
	v_sub_u16_e32 v76, v133, v13
	global_load_dwordx4 v[8:11], v8, s[8:9]
	v_lshlrev_b32_e32 v16, 4, v76
	global_load_dwordx4 v[12:15], v12, s[8:9]
	v_mov_b32_e32 v21, 4
	global_load_dwordx4 v[16:19], v16, s[8:9]
	v_lshlrev_b32_sdwa v235, v21, v172 dst_sel:DWORD dst_unused:UNUSED_PAD src0_sel:DWORD src1_sel:WORD_0
	ds_read_b128 v[21:24], v235
	ds_read_b128 v[40:43], v235 offset:3168
	ds_read_b128 v[33:36], v235 offset:19008
	;; [unrolled: 1-line block ×9, first 2 shown]
	v_mad_legacy_u16 v39, v39, 22, v73
	v_mad_legacy_u16 v27, v27, 22, v76
	;; [unrolled: 1-line block ×4, first 2 shown]
	v_mul_u32_u24_e32 v25, 22, v25
	v_lshlrev_b32_e32 v215, 4, v37
	v_lshlrev_b32_e32 v255, 4, v38
	v_add_lshl_u32 v234, v25, v26, 4
	v_lshlrev_b32_e32 v211, 4, v39
	v_lshlrev_b32_e32 v216, 4, v27
	s_waitcnt vmcnt(0) lgkmcnt(0)
	s_barrier
	s_movk_i32 s18, 0x42
	v_cmp_gt_u16_e64 s[2:3], s18, v172
                                        ; implicit-def: $vgpr96_vgpr97
	v_mul_f64 v[25:26], v[47:48], v[6:7]
	v_mul_f64 v[73:74], v[67:68], v[2:3]
	;; [unrolled: 1-line block ×4, first 2 shown]
	v_fma_f64 v[25:26], v[45:46], v[4:5], -v[25:26]
	v_fma_f64 v[65:66], v[65:66], v[0:1], -v[73:74]
	v_fma_f64 v[73:74], v[67:68], v[0:1], v[75:76]
	v_fma_f64 v[37:38], v[47:48], v[4:5], v[37:38]
	v_mul_f64 v[77:78], v[71:72], v[10:11]
	v_mul_f64 v[79:80], v[69:70], v[10:11]
	;; [unrolled: 1-line block ×6, first 2 shown]
	v_add_f64 v[45:46], v[49:50], -v[25:26]
	v_add_f64 v[47:48], v[51:52], -v[37:38]
	v_fma_f64 v[75:76], v[69:70], v[8:9], -v[77:78]
	v_fma_f64 v[77:78], v[71:72], v[8:9], v[79:80]
	v_fma_f64 v[67:68], v[57:58], v[12:13], -v[81:82]
	v_fma_f64 v[59:60], v[59:60], v[12:13], v[83:84]
	;; [unrolled: 2-line block ×3, first 2 shown]
	v_add_f64 v[57:58], v[53:54], -v[65:66]
	v_fma_f64 v[49:50], v[49:50], 2.0, -v[45:46]
	v_fma_f64 v[51:52], v[51:52], 2.0, -v[47:48]
	v_add_f64 v[38:39], v[63:64], -v[77:78]
	v_add_f64 v[65:66], v[21:22], -v[67:68]
	;; [unrolled: 1-line block ×7, first 2 shown]
	v_fma_f64 v[53:54], v[53:54], 2.0, -v[57:58]
	v_fma_f64 v[63:64], v[63:64], 2.0, -v[38:39]
	;; [unrolled: 1-line block ×8, first 2 shown]
	ds_write_b128 v234, v[65:68] offset:176
	ds_write_b128 v234, v[21:24]
	ds_write_b128 v216, v[40:43]
	ds_write_b128 v216, v[69:72] offset:176
	ds_write_b128 v215, v[49:52]
	ds_write_b128 v215, v[45:48] offset:176
	;; [unrolled: 2-line block ×4, first 2 shown]
	s_waitcnt lgkmcnt(0)
	s_barrier
	ds_read_b128 v[60:63], v235
	ds_read_b128 v[64:67], v235 offset:3168
	ds_read_b128 v[72:75], v235 offset:21120
	;; [unrolled: 1-line block ×8, first 2 shown]
	s_and_saveexec_b64 s[10:11], s[2:3]
	s_cbranch_execz .LBB0_9
; %bb.8:
	ds_read_b128 v[36:39], v235 offset:9504
	ds_read_b128 v[28:31], v235 offset:20064
	;; [unrolled: 1-line block ×3, first 2 shown]
.LBB0_9:
	s_or_b64 exec, exec, s[10:11]
	v_lshrrev_b32_e32 v140, 20, v20
	v_mul_lo_u16_e32 v20, 22, v140
	v_sub_u16_e32 v141, v133, v20
	v_lshrrev_b32_e32 v142, 20, v32
	v_lshlrev_b16_e32 v20, 5, v141
	v_mul_lo_u16_e32 v32, 22, v142
	v_mov_b32_e32 v47, s9
	v_add_co_u32_e32 v33, vcc, s8, v20
	v_sub_u16_e32 v143, v132, v32
	v_lshrrev_b32_e32 v200, 20, v44
	v_lshrrev_b16_e32 v21, 1, v172
	v_addc_co_u32_e32 v34, vcc, 0, v47, vcc
	v_lshlrev_b16_e32 v32, 5, v143
	v_mul_lo_u16_e32 v44, 22, v200
	v_and_b32_e32 v21, 0x7f, v21
	v_add_co_u32_e32 v45, vcc, s8, v32
	v_sub_u16_e32 v202, v134, v44
	v_mul_lo_u16_e32 v21, 0xbb, v21
	v_addc_co_u32_e32 v46, vcc, 0, v47, vcc
	v_lshlrev_b16_e32 v44, 5, v202
	v_lshrrev_b16_e32 v139, 11, v21
	v_add_co_u32_e32 v52, vcc, s8, v44
	v_mul_lo_u16_e32 v54, 22, v139
	v_addc_co_u32_e32 v53, vcc, 0, v47, vcc
	global_load_dwordx4 v[20:23], v[33:34], off offset:192
	global_load_dwordx4 v[24:27], v[33:34], off offset:176
	s_nop 0
	global_load_dwordx4 v[32:35], v[45:46], off offset:192
	global_load_dwordx4 v[40:43], v[45:46], off offset:176
	s_nop 0
	global_load_dwordx4 v[44:47], v[52:53], off offset:192
	global_load_dwordx4 v[48:51], v[52:53], off offset:176
	v_sub_u16_e32 v52, v172, v54
	v_and_b32_e32 v144, 0xff, v52
	v_lshlrev_b32_e32 v100, 5, v144
	global_load_dwordx4 v[56:59], v100, s[8:9] offset:176
	global_load_dwordx4 v[52:55], v100, s[8:9] offset:192
	s_mov_b32 s10, 0xe8584caa
	s_mov_b32 s11, 0x3febb67a
	;; [unrolled: 1-line block ×4, first 2 shown]
	s_waitcnt vmcnt(0) lgkmcnt(0)
	s_barrier
	v_mul_f64 v[104:105], v[82:83], v[22:23]
	v_mul_f64 v[100:101], v[94:95], v[26:27]
	;; [unrolled: 1-line block ×16, first 2 shown]
	v_fma_f64 v[92:93], v[92:93], v[24:25], -v[100:101]
	v_fma_f64 v[94:95], v[94:95], v[24:25], v[102:103]
	v_fma_f64 v[80:81], v[80:81], v[20:21], -v[104:105]
	v_fma_f64 v[82:83], v[82:83], v[20:21], v[106:107]
	v_fma_f64 v[90:91], v[90:91], v[40:41], v[110:111]
	;; [unrolled: 1-line block ×6, first 2 shown]
	v_fma_f64 v[88:89], v[88:89], v[40:41], -v[108:109]
	v_fma_f64 v[84:85], v[84:85], v[32:33], -v[112:113]
	;; [unrolled: 1-line block ×6, first 2 shown]
	v_fma_f64 v[98:99], v[98:99], v[44:45], v[122:123]
	v_add_f64 v[76:77], v[64:65], v[92:93]
	v_add_f64 v[78:79], v[92:93], v[80:81]
	v_add_f64 v[86:87], v[94:95], -v[82:83]
	v_add_f64 v[106:107], v[66:67], v[94:95]
	v_add_f64 v[94:95], v[94:95], v[82:83]
	v_add_f64 v[112:113], v[90:91], -v[100:101]
	v_add_f64 v[114:115], v[70:71], v[90:91]
	v_add_f64 v[90:91], v[90:91], v[100:101]
	;; [unrolled: 1-line block ×7, first 2 shown]
	v_add_f64 v[92:93], v[92:93], -v[80:81]
	v_add_f64 v[108:109], v[68:69], v[88:89]
	v_add_f64 v[116:117], v[88:89], -v[84:85]
	v_add_f64 v[88:89], v[102:103], v[96:97]
	v_add_f64 v[122:123], v[104:105], v[98:99]
	v_add_f64 v[128:129], v[30:31], -v[74:75]
	v_add_f64 v[137:138], v[28:29], -v[72:73]
	v_add_f64 v[28:29], v[76:77], v[80:81]
	v_fma_f64 v[76:77], v[78:79], -0.5, v[64:65]
	v_add_f64 v[30:31], v[106:107], v[82:83]
	v_fma_f64 v[66:67], v[94:95], -0.5, v[66:67]
	v_fma_f64 v[82:83], v[90:91], -0.5, v[70:71]
	v_add_f64 v[70:71], v[130:131], v[74:75]
	v_fma_f64 v[74:75], v[135:136], -0.5, v[62:63]
	;; [unrolled: 3-line block ×3, first 2 shown]
	v_add_f64 v[118:119], v[36:37], v[102:103]
	v_add_f64 v[120:121], v[104:105], -v[98:99]
	v_fma_f64 v[94:95], v[88:89], -0.5, v[36:37]
	v_fma_f64 v[60:61], v[86:87], s[10:11], v[76:77]
	v_fma_f64 v[76:77], v[86:87], s[16:17], v[76:77]
	;; [unrolled: 1-line block ×6, first 2 shown]
	v_add_f64 v[74:75], v[38:39], v[104:105]
	v_fma_f64 v[92:93], v[122:123], -0.5, v[38:39]
	v_add_f64 v[106:107], v[102:103], -v[96:97]
	v_add_f64 v[64:65], v[108:109], v[84:85]
	v_fma_f64 v[84:85], v[128:129], s[10:11], v[72:73]
	v_fma_f64 v[88:89], v[128:129], s[16:17], v[72:73]
	v_add_f64 v[66:67], v[114:115], v[100:101]
	v_add_f64 v[72:73], v[118:119], v[96:97]
	v_fma_f64 v[100:101], v[120:121], s[10:11], v[94:95]
	v_fma_f64 v[104:105], v[120:121], s[16:17], v[94:95]
	v_add_f64 v[74:75], v[74:75], v[98:99]
	v_fma_f64 v[102:103], v[106:107], s[16:17], v[92:93]
	v_fma_f64 v[106:107], v[106:107], s[10:11], v[92:93]
	;; [unrolled: 1-line block ×6, first 2 shown]
	v_mul_u32_u24_e32 v92, 0x42, v139
	v_add_lshl_u32 v244, v92, v144, 4
	ds_write_b128 v244, v[68:71]
	ds_write_b128 v244, v[84:87] offset:352
	ds_write_b128 v244, v[88:91] offset:704
	v_mad_legacy_u16 v68, v140, s18, v141
	v_lshlrev_b32_e32 v245, 4, v68
	ds_write_b128 v245, v[28:31]
	ds_write_b128 v245, v[60:63] offset:352
	ds_write_b128 v245, v[76:79] offset:704
	v_mad_legacy_u16 v28, v142, s18, v143
	v_lshlrev_b32_e32 v246, 4, v28
	ds_write_b128 v246, v[64:67]
	ds_write_b128 v246, v[36:39] offset:352
	ds_write_b128 v246, v[80:83] offset:704
	s_and_saveexec_b64 s[10:11], s[2:3]
	s_cbranch_execz .LBB0_11
; %bb.10:
	v_mul_u32_u24_e32 v28, 0xba2f, v134
	v_lshrrev_b32_e32 v28, 20, v28
	s_movk_i32 s16, 0x42
	v_mad_legacy_u16 v28, v28, s16, v202
	v_lshlrev_b32_e32 v28, 4, v28
	ds_write_b128 v28, v[72:75]
	ds_write_b128 v28, v[100:103] offset:352
	ds_write_b128 v28, v[104:107] offset:704
.LBB0_11:
	s_or_b64 exec, exec, s[10:11]
	s_waitcnt lgkmcnt(0)
	s_barrier
	ds_read_b128 v[92:95], v235
	ds_read_b128 v[88:91], v235 offset:3168
	ds_read_b128 v[116:119], v235 offset:21120
	;; [unrolled: 1-line block ×8, first 2 shown]
	s_and_saveexec_b64 s[10:11], s[2:3]
	s_cbranch_execz .LBB0_13
; %bb.12:
	ds_read_b128 v[72:75], v235 offset:9504
	ds_read_b128 v[100:103], v235 offset:20064
	;; [unrolled: 1-line block ×3, first 2 shown]
.LBB0_13:
	s_or_b64 exec, exec, s[10:11]
	s_movk_i32 s10, 0xf9
	v_mul_lo_u16_sdwa v28, v172, s10 dst_sel:DWORD dst_unused:UNUSED_PAD src0_sel:BYTE_0 src1_sel:DWORD
	v_lshrrev_b16_e32 v36, 14, v28
	v_mul_lo_u16_e32 v28, 0x42, v36
	v_sub_u16_e32 v28, v172, v28
	v_and_b32_e32 v37, 0xff, v28
	v_lshlrev_b32_e32 v28, 5, v37
	s_mov_b32 s10, 0xf83f
	global_load_dwordx4 v[60:63], v28, s[8:9] offset:896
	global_load_dwordx4 v[64:67], v28, s[8:9] offset:880
	v_mul_u32_u24_sdwa v28, v133, s10 dst_sel:DWORD dst_unused:UNUSED_PAD src0_sel:WORD_0 src1_sel:DWORD
	v_lshrrev_b32_e32 v38, 22, v28
	v_mul_lo_u16_e32 v28, 0x42, v38
	v_mul_u32_u24_e32 v30, 0xf83f, v134
	v_sub_u16_e32 v39, v133, v28
	v_lshrrev_b32_e32 v30, 22, v30
	v_lshlrev_b16_e32 v28, 5, v39
	v_mul_lo_u16_e32 v30, 0x42, v30
	v_mov_b32_e32 v68, s9
	v_add_co_u32_e32 v28, vcc, s8, v28
	v_sub_u16_e32 v162, v134, v30
	v_addc_co_u32_e32 v29, vcc, 0, v68, vcc
	v_lshlrev_b16_e32 v30, 5, v162
	v_add_co_u32_e32 v30, vcc, s8, v30
	v_addc_co_u32_e32 v31, vcc, 0, v68, vcc
	global_load_dwordx4 v[236:239], v[30:31], off offset:896
	global_load_dwordx4 v[240:243], v[30:31], off offset:880
	;; [unrolled: 1-line block ×4, first 2 shown]
	v_mul_u32_u24_sdwa v28, v132, s10 dst_sel:DWORD dst_unused:UNUSED_PAD src0_sel:WORD_0 src1_sel:DWORD
	v_lshrrev_b32_e32 v163, 22, v28
	v_mul_lo_u16_e32 v28, 0x42, v163
	v_sub_u16_e32 v164, v132, v28
	v_lshlrev_b16_e32 v28, 5, v164
	v_add_co_u32_e32 v28, vcc, s8, v28
	v_addc_co_u32_e32 v29, vcc, 0, v68, vcc
	global_load_dwordx4 v[84:87], v[28:29], off offset:880
	global_load_dwordx4 v[68:71], v[28:29], off offset:896
	s_mov_b32 s10, 0xe8584caa
	s_mov_b32 s11, 0x3febb67a
	;; [unrolled: 1-line block ×3, first 2 shown]
	v_lshlrev_b32_e32 v247, 4, v162
	s_waitcnt vmcnt(0) lgkmcnt(0)
	s_barrier
	v_mul_f64 v[142:143], v[118:119], v[62:63]
	v_mul_f64 v[138:139], v[130:131], v[66:67]
	;; [unrolled: 1-line block ×12, first 2 shown]
	v_fma_f64 v[100:101], v[100:101], v[240:241], -v[28:29]
	v_fma_f64 v[132:133], v[102:103], v[240:241], v[30:31]
	v_fma_f64 v[102:103], v[104:105], v[236:237], -v[134:135]
	v_mul_f64 v[154:155], v[122:123], v[86:87]
	v_mul_f64 v[156:157], v[120:121], v[86:87]
	;; [unrolled: 1-line block ×4, first 2 shown]
	v_fma_f64 v[104:105], v[106:107], v[236:237], v[136:137]
	v_fma_f64 v[28:29], v[128:129], v[64:65], -v[138:139]
	v_fma_f64 v[30:31], v[130:131], v[64:65], v[140:141]
	v_fma_f64 v[106:107], v[116:117], v[60:61], -v[142:143]
	;; [unrolled: 2-line block ×6, first 2 shown]
	v_fma_f64 v[122:123], v[114:115], v[68:69], v[160:161]
	v_add_f64 v[114:115], v[100:101], v[102:103]
	v_add_f64 v[130:131], v[28:29], v[106:107]
	v_add_f64 v[136:137], v[30:31], -v[116:117]
	v_add_f64 v[138:139], v[94:95], v[30:31]
	v_add_f64 v[30:31], v[30:31], v[116:117]
	;; [unrolled: 1-line block ×3, first 2 shown]
	v_add_f64 v[144:145], v[124:125], -v[110:111]
	v_add_f64 v[146:147], v[90:91], v[124:125]
	v_add_f64 v[124:125], v[124:125], v[110:111]
	;; [unrolled: 1-line block ×4, first 2 shown]
	v_add_f64 v[28:29], v[28:29], -v[106:107]
	v_add_f64 v[140:141], v[88:89], v[118:119]
	v_add_f64 v[118:119], v[118:119], -v[126:127]
	v_add_f64 v[148:149], v[96:97], v[108:109]
	v_add_f64 v[150:151], v[108:109], v[112:113]
	v_add_f64 v[152:153], v[120:121], -v[122:123]
	v_add_f64 v[154:155], v[98:99], v[120:121]
	v_add_f64 v[120:121], v[120:121], v[122:123]
	v_add_f64 v[156:157], v[108:109], -v[112:113]
	v_fma_f64 v[158:159], v[114:115], -0.5, v[72:73]
	v_fma_f64 v[114:115], v[130:131], -0.5, v[92:93]
	v_add_f64 v[108:109], v[138:139], v[116:117]
	v_fma_f64 v[30:31], v[30:31], -0.5, v[94:95]
	v_fma_f64 v[116:117], v[142:143], -0.5, v[88:89]
	;; [unrolled: 1-line block ×3, first 2 shown]
	v_add_f64 v[106:107], v[128:129], v[106:107]
	v_add_f64 v[94:95], v[146:147], v[110:111]
	;; [unrolled: 1-line block ×3, first 2 shown]
	v_fma_f64 v[124:125], v[150:151], -0.5, v[96:97]
	v_fma_f64 v[120:121], v[120:121], -0.5, v[98:99]
	v_fma_f64 v[96:97], v[136:137], s[10:11], v[114:115]
	v_fma_f64 v[110:111], v[136:137], s[16:17], v[114:115]
	;; [unrolled: 1-line block ×8, first 2 shown]
	v_add_f64 v[28:29], v[132:133], -v[104:105]
	v_fma_f64 v[30:31], v[134:135], -0.5, v[74:75]
	v_add_f64 v[118:119], v[100:101], -v[102:103]
	v_add_f64 v[92:93], v[140:141], v[126:127]
	v_fma_f64 v[134:135], v[152:153], s[10:11], v[124:125]
	v_fma_f64 v[138:139], v[152:153], s[16:17], v[124:125]
	v_add_f64 v[90:91], v[154:155], v[122:123]
	v_fma_f64 v[136:137], v[156:157], s[16:17], v[120:121]
	v_fma_f64 v[140:141], v[156:157], s[10:11], v[120:121]
	v_fma_f64 v[124:125], v[28:29], s[10:11], v[158:159]
	v_fma_f64 v[120:121], v[28:29], s[16:17], v[158:159]
	v_fma_f64 v[126:127], v[118:119], s[16:17], v[30:31]
	v_fma_f64 v[122:123], v[118:119], s[10:11], v[30:31]
	s_movk_i32 s10, 0xc6
	v_mul_u32_u24_e32 v28, 0xc6, v36
	v_add_lshl_u32 v248, v28, v37, 4
	v_mad_legacy_u16 v28, v38, s10, v39
	v_lshlrev_b32_e32 v249, 4, v28
	v_mad_legacy_u16 v28, v163, s10, v164
	v_lshlrev_b32_e32 v250, 4, v28
	ds_write_b128 v248, v[106:109]
	ds_write_b128 v248, v[96:99] offset:1056
	ds_write_b128 v248, v[110:113] offset:2112
	ds_write_b128 v249, v[92:95]
	ds_write_b128 v249, v[114:117] offset:1056
	ds_write_b128 v249, v[128:131] offset:2112
	;; [unrolled: 3-line block ×3, first 2 shown]
	s_and_saveexec_b64 s[10:11], s[2:3]
	s_cbranch_execz .LBB0_15
; %bb.14:
	v_add_f64 v[28:29], v[74:75], v[132:133]
	v_add_f64 v[30:31], v[72:73], v[100:101]
	;; [unrolled: 1-line block ×4, first 2 shown]
	ds_write_b128 v247, v[124:127] offset:29568
	ds_write_b128 v247, v[72:75] offset:28512
	;; [unrolled: 1-line block ×3, first 2 shown]
.LBB0_15:
	s_or_b64 exec, exec, s[10:11]
	v_lshlrev_b32_e32 v28, 6, v172
	s_waitcnt lgkmcnt(0)
	s_barrier
	global_load_dwordx4 v[96:99], v28, s[8:9] offset:2992
	global_load_dwordx4 v[92:95], v28, s[8:9] offset:3008
	;; [unrolled: 1-line block ×4, first 2 shown]
	ds_read_b128 v[100:103], v235
	ds_read_b128 v[104:107], v235 offset:3168
	ds_read_b128 v[108:111], v235 offset:6336
	ds_read_b128 v[112:115], v235 offset:9504
	ds_read_b128 v[116:119], v235 offset:12672
	ds_read_b128 v[128:131], v235 offset:15840
	ds_read_b128 v[132:135], v235 offset:19008
	ds_read_b128 v[136:139], v235 offset:22176
	ds_read_b128 v[140:143], v235 offset:25344
	ds_read_b128 v[144:147], v235 offset:28512
	v_mov_b32_e32 v29, s9
	v_add_co_u32_e32 v36, vcc, s8, v28
	v_addc_co_u32_e32 v37, vcc, 0, v29, vcc
	s_mov_b32 s18, 0x134454ff
	s_mov_b32 s19, 0x3fee6f0e
	;; [unrolled: 1-line block ×10, first 2 shown]
	s_waitcnt vmcnt(0) lgkmcnt(0)
	s_barrier
	v_mul_f64 v[28:29], v[110:111], v[98:99]
	v_mul_f64 v[30:31], v[108:109], v[98:99]
	;; [unrolled: 1-line block ×12, first 2 shown]
	v_fma_f64 v[28:29], v[108:109], v[96:97], -v[28:29]
	v_fma_f64 v[30:31], v[110:111], v[96:97], v[30:31]
	v_fma_f64 v[108:109], v[116:117], v[92:93], -v[148:149]
	v_fma_f64 v[110:111], v[118:119], v[92:93], v[150:151]
	;; [unrolled: 2-line block ×4, first 2 shown]
	v_mul_f64 v[166:167], v[128:129], v[94:95]
	v_mul_f64 v[168:169], v[138:139], v[90:91]
	;; [unrolled: 1-line block ×4, first 2 shown]
	v_fma_f64 v[140:141], v[112:113], v[96:97], -v[160:161]
	v_fma_f64 v[142:143], v[114:115], v[96:97], v[162:163]
	v_fma_f64 v[148:149], v[128:129], v[92:93], -v[164:165]
	v_fma_f64 v[144:145], v[144:145], v[72:73], -v[173:174]
	v_add_f64 v[112:113], v[100:101], v[28:29]
	v_add_f64 v[114:115], v[108:109], v[116:117]
	v_add_f64 v[152:153], v[28:29], -v[108:109]
	v_add_f64 v[154:155], v[132:133], -v[116:117]
	v_add_f64 v[162:163], v[102:103], v[30:31]
	v_add_f64 v[164:165], v[110:111], v[118:119]
	;; [unrolled: 1-line block ×3, first 2 shown]
	v_fma_f64 v[150:151], v[130:131], v[92:93], v[166:167]
	v_fma_f64 v[136:137], v[136:137], v[88:89], -v[168:169]
	v_fma_f64 v[138:139], v[138:139], v[88:89], v[170:171]
	v_add_f64 v[128:129], v[30:31], -v[134:135]
	v_add_f64 v[130:131], v[110:111], -v[118:119]
	v_add_f64 v[156:157], v[28:29], v[132:133]
	v_add_f64 v[158:159], v[108:109], -v[28:29]
	v_add_f64 v[28:29], v[28:29], -v[132:133]
	;; [unrolled: 1-line block ×6, first 2 shown]
	v_add_f64 v[108:109], v[112:113], v[108:109]
	v_fma_f64 v[112:113], v[114:115], -0.5, v[100:101]
	v_add_f64 v[114:115], v[152:153], v[154:155]
	v_add_f64 v[110:111], v[162:163], v[110:111]
	v_fma_f64 v[154:155], v[164:165], -0.5, v[102:103]
	v_fma_f64 v[102:103], v[173:174], -0.5, v[102:103]
	v_fma_f64 v[146:147], v[146:147], v[72:73], v[175:176]
	v_add_f64 v[160:161], v[116:117], -v[132:133]
	v_add_f64 v[175:176], v[118:119], -v[134:135]
	v_add_f64 v[177:178], v[104:105], v[140:141]
	v_fma_f64 v[100:101], v[156:157], -0.5, v[100:101]
	v_add_f64 v[156:157], v[168:169], v[170:171]
	v_add_f64 v[108:109], v[108:109], v[116:117]
	v_fma_f64 v[116:117], v[128:129], s[18:19], v[112:113]
	v_fma_f64 v[112:113], v[128:129], s[20:21], v[112:113]
	v_add_f64 v[110:111], v[110:111], v[118:119]
	v_fma_f64 v[118:119], v[28:29], s[20:21], v[154:155]
	v_fma_f64 v[154:155], v[28:29], s[18:19], v[154:155]
	;; [unrolled: 1-line block ×4, first 2 shown]
	v_add_f64 v[179:180], v[148:149], v[136:137]
	v_add_f64 v[189:190], v[140:141], v[144:145]
	;; [unrolled: 1-line block ×5, first 2 shown]
	v_fma_f64 v[164:165], v[130:131], s[20:21], v[100:101]
	v_fma_f64 v[168:169], v[130:131], s[18:19], v[100:101]
	v_add_f64 v[100:101], v[108:109], v[132:133]
	v_fma_f64 v[108:109], v[130:131], s[10:11], v[116:117]
	v_fma_f64 v[112:113], v[130:131], s[8:9], v[112:113]
	v_add_f64 v[102:103], v[110:111], v[134:135]
	v_fma_f64 v[110:111], v[166:167], s[8:9], v[118:119]
	v_fma_f64 v[118:119], v[166:167], s[10:11], v[154:155]
	v_fma_f64 v[130:131], v[28:29], s[8:9], v[170:171]
	v_fma_f64 v[28:29], v[28:29], s[10:11], v[173:174]
	v_add_f64 v[181:182], v[142:143], -v[146:147]
	v_add_f64 v[183:184], v[150:151], -v[138:139]
	v_fma_f64 v[160:161], v[179:180], -0.5, v[104:105]
	v_add_f64 v[158:159], v[158:159], v[136:137]
	v_fma_f64 v[116:117], v[128:129], s[10:11], v[164:165]
	v_fma_f64 v[128:129], v[128:129], s[8:9], v[168:169]
	;; [unrolled: 1-line block ×4, first 2 shown]
	v_fma_f64 v[134:135], v[189:190], -0.5, v[104:105]
	v_fma_f64 v[114:115], v[156:157], s[16:17], v[118:119]
	v_fma_f64 v[118:119], v[30:31], s[16:17], v[130:131]
	;; [unrolled: 1-line block ×3, first 2 shown]
	v_add_f64 v[28:29], v[150:151], v[138:139]
	v_fma_f64 v[110:111], v[156:157], s[16:17], v[110:111]
	v_add_f64 v[156:157], v[142:143], v[146:147]
	v_add_f64 v[185:186], v[140:141], -v[148:149]
	v_fma_f64 v[175:176], v[181:182], s[18:19], v[160:161]
	v_fma_f64 v[116:117], v[152:153], s[16:17], v[116:117]
	;; [unrolled: 1-line block ×3, first 2 shown]
	v_add_f64 v[104:105], v[158:159], v[144:145]
	v_fma_f64 v[30:31], v[181:182], s[20:21], v[160:161]
	v_fma_f64 v[152:153], v[183:184], s[20:21], v[134:135]
	v_add_f64 v[154:155], v[148:149], -v[140:141]
	v_add_f64 v[158:159], v[136:137], -v[144:145]
	v_add_f64 v[160:161], v[106:107], v[142:143]
	v_fma_f64 v[28:29], v[28:29], -0.5, v[106:107]
	v_add_f64 v[140:141], v[140:141], -v[144:145]
	v_add_f64 v[187:188], v[144:145], -v[136:137]
	;; [unrolled: 1-line block ×3, first 2 shown]
	v_fma_f64 v[106:107], v[156:157], -0.5, v[106:107]
	v_fma_f64 v[144:145], v[181:182], s[10:11], v[152:153]
	v_add_f64 v[148:149], v[154:155], v[158:159]
	v_add_f64 v[152:153], v[160:161], v[150:151]
	v_add_f64 v[156:157], v[142:143], -v[150:151]
	v_fma_f64 v[154:155], v[140:141], s[20:21], v[28:29]
	v_add_f64 v[158:159], v[146:147], -v[138:139]
	v_fma_f64 v[28:29], v[140:141], s[18:19], v[28:29]
	v_fma_f64 v[134:135], v[183:184], s[18:19], v[134:135]
	;; [unrolled: 1-line block ×3, first 2 shown]
	v_add_f64 v[142:143], v[150:151], -v[142:143]
	v_add_f64 v[150:151], v[138:139], -v[146:147]
	v_fma_f64 v[106:107], v[136:137], s[20:21], v[106:107]
	v_add_f64 v[138:139], v[152:153], v[138:139]
	v_fma_f64 v[152:153], v[136:137], s[8:9], v[154:155]
	v_add_f64 v[154:155], v[156:157], v[158:159]
	;; [unrolled: 2-line block ×3, first 2 shown]
	v_fma_f64 v[30:31], v[183:184], s[8:9], v[30:31]
	v_fma_f64 v[132:133], v[183:184], s[10:11], v[175:176]
	;; [unrolled: 1-line block ×4, first 2 shown]
	v_add_f64 v[150:151], v[142:143], v[150:151]
	v_fma_f64 v[158:159], v[140:141], s[10:11], v[106:107]
	v_add_f64 v[106:107], v[138:139], v[146:147]
	v_fma_f64 v[138:139], v[154:155], s[16:17], v[28:29]
	v_mul_i32_i24_e32 v29, 0xffffffd0, v172
	v_fma_f64 v[136:137], v[162:163], s[16:17], v[30:31]
	v_mul_hi_i32_i24_e32 v28, 0xffffffd0, v172
	v_add_co_u32_e32 v30, vcc, v36, v29
	v_addc_co_u32_e32 v31, vcc, v37, v28, vcc
	s_movk_i32 s8, 0x3000
	v_fma_f64 v[132:133], v[162:163], s[16:17], v[132:133]
	v_fma_f64 v[140:141], v[148:149], s[16:17], v[144:145]
	;; [unrolled: 1-line block ×4, first 2 shown]
	v_add_co_u32_e32 v28, vcc, s8, v30
	v_fma_f64 v[142:143], v[150:151], s[16:17], v[156:157]
	v_addc_co_u32_e32 v29, vcc, 0, v31, vcc
	v_fma_f64 v[146:147], v[150:151], s[16:17], v[158:159]
	ds_write_b128 v235, v[100:103]
	ds_write_b128 v235, v[108:111] offset:3168
	ds_write_b128 v235, v[116:119] offset:6336
	;; [unrolled: 1-line block ×9, first 2 shown]
	s_waitcnt lgkmcnt(0)
	s_barrier
	global_load_dwordx4 v[100:103], v[28:29], off offset:3376
	s_movk_i32 s8, 0x4000
	v_add_co_u32_e32 v28, vcc, s8, v30
	v_addc_co_u32_e32 v29, vcc, 0, v31, vcc
	s_movk_i32 s8, 0x5000
	global_load_dwordx4 v[104:107], v[28:29], off offset:2448
	v_add_co_u32_e32 v28, vcc, s8, v30
	v_addc_co_u32_e32 v29, vcc, 0, v31, vcc
	s_movk_i32 s8, 0x6000
	global_load_dwordx4 v[108:111], v[28:29], off offset:1520
	v_add_co_u32_e32 v28, vcc, s8, v30
	v_addc_co_u32_e32 v29, vcc, 0, v31, vcc
	global_load_dwordx4 v[112:115], v[28:29], off offset:592
	global_load_dwordx4 v[116:119], v[28:29], off offset:3760
	ds_read_b128 v[128:131], v235 offset:15840
	ds_read_b128 v[136:139], v235
	ds_read_b128 v[148:151], v235 offset:3168
	ds_read_b128 v[132:135], v235 offset:19008
	;; [unrolled: 1-line block ×8, first 2 shown]
	s_waitcnt vmcnt(4) lgkmcnt(9)
	v_mul_f64 v[28:29], v[130:131], v[102:103]
	v_mul_f64 v[30:31], v[128:129], v[102:103]
	s_waitcnt vmcnt(3) lgkmcnt(6)
	v_mul_f64 v[168:169], v[134:135], v[106:107]
	v_mul_f64 v[170:171], v[132:133], v[106:107]
	v_fma_f64 v[28:29], v[128:129], v[100:101], -v[28:29]
	v_fma_f64 v[30:31], v[130:131], v[100:101], v[30:31]
	s_waitcnt vmcnt(2) lgkmcnt(5)
	v_mul_f64 v[128:129], v[142:143], v[110:111]
	v_mul_f64 v[130:131], v[140:141], v[110:111]
	v_fma_f64 v[168:169], v[132:133], v[104:105], -v[168:169]
	v_fma_f64 v[170:171], v[134:135], v[104:105], v[170:171]
	s_waitcnt vmcnt(1) lgkmcnt(1)
	v_mul_f64 v[173:174], v[146:147], v[114:115]
	v_mul_f64 v[175:176], v[144:145], v[114:115]
	s_waitcnt vmcnt(0) lgkmcnt(0)
	v_mul_f64 v[177:178], v[162:163], v[118:119]
	v_mul_f64 v[179:180], v[160:161], v[118:119]
	v_add_f64 v[132:133], v[136:137], -v[28:29]
	v_add_f64 v[134:135], v[138:139], -v[30:31]
	v_fma_f64 v[28:29], v[140:141], v[108:109], -v[128:129]
	v_fma_f64 v[30:31], v[142:143], v[108:109], v[130:131]
	v_fma_f64 v[144:145], v[144:145], v[112:113], -v[173:174]
	v_fma_f64 v[146:147], v[146:147], v[112:113], v[175:176]
	;; [unrolled: 2-line block ×3, first 2 shown]
	v_fma_f64 v[128:129], v[136:137], 2.0, -v[132:133]
	v_fma_f64 v[130:131], v[138:139], 2.0, -v[134:135]
	v_add_f64 v[136:137], v[148:149], -v[168:169]
	v_add_f64 v[138:139], v[150:151], -v[170:171]
	;; [unrolled: 1-line block ×8, first 2 shown]
	v_fma_f64 v[148:149], v[148:149], 2.0, -v[136:137]
	v_fma_f64 v[150:151], v[150:151], 2.0, -v[138:139]
	;; [unrolled: 1-line block ×8, first 2 shown]
	ds_write_b128 v235, v[128:131]
	ds_write_b128 v235, v[132:135] offset:15840
	ds_write_b128 v235, v[148:151] offset:3168
	;; [unrolled: 1-line block ×9, first 2 shown]
	s_waitcnt lgkmcnt(0)
	s_barrier
	s_and_saveexec_b64 s[8:9], s[0:1]
	s_cbranch_execz .LBB0_17
; %bb.16:
	v_add_co_u32_e32 v36, vcc, s14, v233
	v_mov_b32_e32 v28, s15
	v_addc_co_u32_e32 v37, vcc, 0, v28, vcc
	v_add_co_u32_e32 v28, vcc, 0x7bc0, v36
	v_addc_co_u32_e32 v29, vcc, 0, v37, vcc
	v_add_co_u32_e32 v30, vcc, 0x7000, v36
	v_addc_co_u32_e32 v31, vcc, 0, v37, vcc
	global_load_dwordx4 v[173:176], v[30:31], off offset:3008
	ds_read_b128 v[168:171], v235
	s_mov_b32 s10, 0x9000
	s_waitcnt vmcnt(0) lgkmcnt(0)
	v_mul_f64 v[30:31], v[170:171], v[175:176]
	v_fma_f64 v[177:178], v[168:169], v[173:174], -v[30:31]
	v_mul_f64 v[30:31], v[168:169], v[175:176]
	v_fma_f64 v[179:180], v[170:171], v[173:174], v[30:31]
	global_load_dwordx4 v[173:176], v[28:29], off offset:2880
	ds_write_b128 v235, v[177:180]
	ds_read_b128 v[168:171], v233 offset:2880
	s_waitcnt vmcnt(0) lgkmcnt(0)
	v_mul_f64 v[28:29], v[170:171], v[175:176]
	v_fma_f64 v[177:178], v[168:169], v[173:174], -v[28:29]
	v_mul_f64 v[28:29], v[168:169], v[175:176]
	v_fma_f64 v[179:180], v[170:171], v[173:174], v[28:29]
	v_add_co_u32_e32 v28, vcc, s10, v36
	v_addc_co_u32_e32 v29, vcc, 0, v37, vcc
	global_load_dwordx4 v[173:176], v[28:29], off offset:576
	ds_read_b128 v[168:171], v233 offset:5760
	s_mov_b32 s10, 0xa000
	ds_write_b128 v233, v[177:180] offset:2880
	s_waitcnt vmcnt(0) lgkmcnt(1)
	v_mul_f64 v[30:31], v[170:171], v[175:176]
	v_fma_f64 v[177:178], v[168:169], v[173:174], -v[30:31]
	v_mul_f64 v[30:31], v[168:169], v[175:176]
	v_fma_f64 v[179:180], v[170:171], v[173:174], v[30:31]
	global_load_dwordx4 v[173:176], v[28:29], off offset:3456
	ds_read_b128 v[168:171], v233 offset:8640
	ds_write_b128 v233, v[177:180] offset:5760
	s_waitcnt vmcnt(0) lgkmcnt(1)
	v_mul_f64 v[28:29], v[170:171], v[175:176]
	v_fma_f64 v[177:178], v[168:169], v[173:174], -v[28:29]
	v_mul_f64 v[28:29], v[168:169], v[175:176]
	v_fma_f64 v[179:180], v[170:171], v[173:174], v[28:29]
	v_add_co_u32_e32 v28, vcc, s10, v36
	v_addc_co_u32_e32 v29, vcc, 0, v37, vcc
	global_load_dwordx4 v[173:176], v[28:29], off offset:2240
	ds_read_b128 v[168:171], v233 offset:11520
	s_mov_b32 s10, 0xb000
	ds_write_b128 v233, v[177:180] offset:8640
	s_waitcnt vmcnt(0) lgkmcnt(1)
	v_mul_f64 v[28:29], v[170:171], v[175:176]
	v_fma_f64 v[177:178], v[168:169], v[173:174], -v[28:29]
	v_mul_f64 v[28:29], v[168:169], v[175:176]
	v_fma_f64 v[179:180], v[170:171], v[173:174], v[28:29]
	v_add_co_u32_e32 v28, vcc, s10, v36
	v_addc_co_u32_e32 v29, vcc, 0, v37, vcc
	global_load_dwordx4 v[173:176], v[28:29], off offset:1024
	ds_read_b128 v[168:171], v233 offset:14400
	s_mov_b32 s10, 0xc000
	ds_write_b128 v233, v[177:180] offset:11520
	s_waitcnt vmcnt(0) lgkmcnt(1)
	v_mul_f64 v[30:31], v[170:171], v[175:176]
	v_fma_f64 v[177:178], v[168:169], v[173:174], -v[30:31]
	v_mul_f64 v[30:31], v[168:169], v[175:176]
	v_fma_f64 v[179:180], v[170:171], v[173:174], v[30:31]
	global_load_dwordx4 v[173:176], v[28:29], off offset:3904
	ds_read_b128 v[168:171], v233 offset:17280
	ds_write_b128 v233, v[177:180] offset:14400
	s_waitcnt vmcnt(0) lgkmcnt(1)
	v_mul_f64 v[28:29], v[170:171], v[175:176]
	v_fma_f64 v[177:178], v[168:169], v[173:174], -v[28:29]
	v_mul_f64 v[28:29], v[168:169], v[175:176]
	v_fma_f64 v[179:180], v[170:171], v[173:174], v[28:29]
	v_add_co_u32_e32 v28, vcc, s10, v36
	v_addc_co_u32_e32 v29, vcc, 0, v37, vcc
	global_load_dwordx4 v[173:176], v[28:29], off offset:2688
	ds_read_b128 v[168:171], v233 offset:20160
	s_mov_b32 s10, 0xd000
	ds_write_b128 v233, v[177:180] offset:17280
	s_waitcnt vmcnt(0) lgkmcnt(1)
	v_mul_f64 v[28:29], v[170:171], v[175:176]
	v_fma_f64 v[177:178], v[168:169], v[173:174], -v[28:29]
	v_mul_f64 v[28:29], v[168:169], v[175:176]
	v_fma_f64 v[179:180], v[170:171], v[173:174], v[28:29]
	v_add_co_u32_e32 v28, vcc, s10, v36
	v_addc_co_u32_e32 v29, vcc, 0, v37, vcc
	global_load_dwordx4 v[173:176], v[28:29], off offset:1472
	ds_read_b128 v[168:171], v233 offset:23040
	s_mov_b32 s10, 0xe000
	ds_write_b128 v233, v[177:180] offset:20160
	s_waitcnt vmcnt(0) lgkmcnt(1)
	v_mul_f64 v[28:29], v[170:171], v[175:176]
	v_fma_f64 v[177:178], v[168:169], v[173:174], -v[28:29]
	v_mul_f64 v[28:29], v[168:169], v[175:176]
	v_fma_f64 v[179:180], v[170:171], v[173:174], v[28:29]
	v_add_co_u32_e32 v28, vcc, s10, v36
	v_addc_co_u32_e32 v29, vcc, 0, v37, vcc
	global_load_dwordx4 v[173:176], v[28:29], off offset:256
	ds_read_b128 v[168:171], v233 offset:25920
	ds_write_b128 v233, v[177:180] offset:23040
	s_waitcnt vmcnt(0) lgkmcnt(1)
	v_mul_f64 v[30:31], v[170:171], v[175:176]
	v_fma_f64 v[177:178], v[168:169], v[173:174], -v[30:31]
	v_mul_f64 v[30:31], v[168:169], v[175:176]
	v_fma_f64 v[179:180], v[170:171], v[173:174], v[30:31]
	global_load_dwordx4 v[173:176], v[28:29], off offset:3136
	ds_read_b128 v[168:171], v233 offset:28800
	ds_write_b128 v233, v[177:180] offset:25920
	s_waitcnt vmcnt(0) lgkmcnt(1)
	v_mul_f64 v[28:29], v[170:171], v[175:176]
	v_fma_f64 v[177:178], v[168:169], v[173:174], -v[28:29]
	v_mul_f64 v[28:29], v[168:169], v[175:176]
	v_fma_f64 v[179:180], v[170:171], v[173:174], v[28:29]
	ds_write_b128 v233, v[177:180] offset:28800
.LBB0_17:
	s_or_b64 exec, exec, s[8:9]
	s_waitcnt lgkmcnt(0)
	s_barrier
	s_and_saveexec_b64 s[8:9], s[0:1]
	s_cbranch_execz .LBB0_19
; %bb.18:
	ds_read_b128 v[128:131], v235
	ds_read_b128 v[132:135], v235 offset:2880
	ds_read_b128 v[148:151], v235 offset:5760
	;; [unrolled: 1-line block ×10, first 2 shown]
.LBB0_19:
	s_or_b64 exec, exec, s[8:9]
	s_waitcnt lgkmcnt(0)
	v_add_f64 v[195:196], v[134:135], -v[126:127]
	s_mov_b32 s22, 0xf8bb580b
	s_mov_b32 s23, 0xbfe14ced
	v_add_f64 v[173:174], v[132:133], v[124:125]
	v_add_f64 v[183:184], v[134:135], v[126:127]
	v_add_f64 v[189:190], v[150:151], -v[162:163]
	s_mov_b32 s8, 0x8764f0ba
	s_mov_b32 s24, 0x8eee2c13
	v_mul_f64 v[36:37], v[195:196], s[22:23]
	s_mov_b32 s9, 0x3feaeb8c
	s_mov_b32 s25, 0xbfed1bb4
	v_add_f64 v[193:194], v[132:133], -v[124:125]
	v_mul_f64 v[38:39], v[183:184], s[8:9]
	v_add_f64 v[177:178], v[148:149], v[160:161]
	v_add_f64 v[181:182], v[150:151], v[162:163]
	v_mul_f64 v[175:176], v[189:190], s[24:25]
	v_fma_f64 v[28:29], v[173:174], s[8:9], -v[36:37]
	s_mov_b32 s10, 0xd9c712b6
	s_mov_b32 s11, 0x3fda9628
	v_add_f64 v[207:208], v[148:149], -v[160:161]
	v_fma_f64 v[30:31], v[193:194], s[22:23], v[38:39]
	v_add_f64 v[205:206], v[138:139], -v[166:167]
	v_mul_f64 v[179:180], v[181:182], s[10:11]
	v_fma_f64 v[168:169], v[177:178], s[10:11], -v[175:176]
	v_add_f64 v[28:29], v[128:129], v[28:29]
	s_mov_b32 s36, 0x43842ef
	s_mov_b32 s37, 0xbfefac9e
	v_add_f64 v[191:192], v[136:137], v[164:165]
	v_add_f64 v[30:31], v[130:131], v[30:31]
	;; [unrolled: 1-line block ×3, first 2 shown]
	v_mul_f64 v[185:186], v[205:206], s[36:37]
	s_mov_b32 s16, 0x640f44db
	v_add_f64 v[28:29], v[168:169], v[28:29]
	v_fma_f64 v[168:169], v[207:208], s[24:25], v[179:180]
	s_mov_b32 s17, 0xbfc2375f
	v_add_f64 v[225:226], v[136:137], -v[164:165]
	v_add_f64 v[217:218], v[154:155], -v[146:147]
	v_mul_f64 v[187:188], v[197:198], s[16:17]
	s_mov_b32 s26, 0xbb3a28a1
	s_mov_b32 s27, 0xbfe82f19
	v_add_f64 v[203:204], v[152:153], v[144:145]
	v_add_f64 v[30:31], v[168:169], v[30:31]
	v_fma_f64 v[168:169], v[191:192], s[16:17], -v[185:186]
	v_add_f64 v[209:210], v[154:155], v[146:147]
	v_mul_f64 v[251:252], v[217:218], s[26:27]
	s_mov_b32 s20, 0x7f775887
	s_mov_b32 s21, 0xbfe4f49e
	v_add_f64 v[229:230], v[152:153], -v[144:145]
	v_add_f64 v[227:228], v[142:143], -v[158:159]
	s_mov_b32 s31, 0xbfd207e7
	v_add_f64 v[28:29], v[168:169], v[28:29]
	v_fma_f64 v[168:169], v[225:226], s[36:37], v[187:188]
	v_mul_f64 v[253:254], v[209:210], s[20:21]
	s_mov_b32 s30, 0xfd768dbf
	v_add_f64 v[213:214], v[140:141], v[156:157]
	v_add_f64 v[221:222], v[142:143], v[158:159]
	v_mul_f64 v[219:220], v[227:228], s[30:31]
	s_mov_b32 s28, 0x9bcd5057
	s_mov_b32 s29, 0xbfeeb42a
	v_add_f64 v[30:31], v[168:169], v[30:31]
	v_fma_f64 v[168:169], v[203:204], s[20:21], -v[251:252]
	v_add_f64 v[231:232], v[140:141], -v[156:157]
	v_mul_f64 v[223:224], v[221:222], s[28:29]
	s_barrier
	v_add_f64 v[28:29], v[168:169], v[28:29]
	v_fma_f64 v[168:169], v[229:230], s[26:27], v[253:254]
	v_add_f64 v[30:31], v[168:169], v[30:31]
	v_fma_f64 v[168:169], v[213:214], s[28:29], -v[219:220]
	v_add_f64 v[168:169], v[168:169], v[28:29]
	v_fma_f64 v[28:29], v[231:232], s[30:31], v[223:224]
	v_add_f64 v[170:171], v[28:29], v[30:31]
	s_and_saveexec_b64 s[18:19], s[0:1]
	s_cbranch_execz .LBB0_21
; %bb.20:
	v_mul_f64 v[30:31], v[173:174], s[8:9]
	v_mul_f64 v[28:29], v[193:194], s[30:31]
	s_mov_b32 s35, 0x3fe14ced
	s_mov_b32 s34, s22
	s_mov_b32 s41, 0x3fed1bb4
	s_mov_b32 s40, s24
	s_mov_b32 s39, 0x3fefac9e
	s_mov_b32 s38, s36
	buffer_store_dword v30, off, s[44:47], 0 offset:96 ; 4-byte Folded Spill
	s_nop 0
	buffer_store_dword v31, off, s[44:47], 0 offset:100 ; 4-byte Folded Spill
	v_mul_f64 v[30:31], v[193:194], s[22:23]
	v_add_f64 v[134:135], v[130:131], v[134:135]
	v_add_f64 v[132:133], v[128:129], v[132:133]
	buffer_store_dword v30, off, s[44:47], 0 offset:112 ; 4-byte Folded Spill
	s_nop 0
	buffer_store_dword v31, off, s[44:47], 0 offset:116 ; 4-byte Folded Spill
	v_mul_f64 v[30:31], v[177:178], s[10:11]
	v_add_f64 v[134:135], v[134:135], v[150:151]
	v_add_f64 v[132:133], v[132:133], v[148:149]
	;; [unrolled: 6-line block ×3, first 2 shown]
	v_mul_f64 v[136:137], v[217:218], s[38:39]
	buffer_store_dword v30, off, s[44:47], 0 offset:104 ; 4-byte Folded Spill
	s_nop 0
	buffer_store_dword v31, off, s[44:47], 0 offset:108 ; 4-byte Folded Spill
	buffer_store_dword v0, off, s[44:47], 0 offset:12 ; 4-byte Folded Spill
	s_nop 0
	buffer_store_dword v1, off, s[44:47], 0 offset:16 ; 4-byte Folded Spill
	buffer_store_dword v2, off, s[44:47], 0 offset:20 ; 4-byte Folded Spill
	;; [unrolled: 1-line block ×4, first 2 shown]
	s_nop 0
	buffer_store_dword v237, off, s[44:47], 0 offset:32 ; 4-byte Folded Spill
	buffer_store_dword v238, off, s[44:47], 0 offset:36 ; 4-byte Folded Spill
	;; [unrolled: 1-line block ×3, first 2 shown]
	v_mul_f64 v[0:1], v[191:192], s[16:17]
	v_mul_f64 v[30:31], v[207:208], s[34:35]
	v_fma_f64 v[236:237], v[183:184], s[28:29], v[28:29]
	v_mul_f64 v[238:239], v[195:196], s[30:31]
	v_fma_f64 v[28:29], v[183:184], s[28:29], -v[28:29]
	v_mov_b32_e32 v3, v249
	v_mov_b32_e32 v2, v250
	buffer_store_dword v0, off, s[44:47], 0 offset:80 ; 4-byte Folded Spill
	s_nop 0
	buffer_store_dword v1, off, s[44:47], 0 offset:84 ; 4-byte Folded Spill
	v_mul_f64 v[0:1], v[225:226], s[36:37]
	v_add_f64 v[236:237], v[130:131], v[236:237]
	v_mov_b32_e32 v250, v216
	v_add_f64 v[28:29], v[130:131], v[28:29]
	v_mov_b32_e32 v216, v211
	v_add_f64 v[132:133], v[132:133], v[152:153]
	v_add_f64 v[134:135], v[134:135], v[154:155]
	buffer_store_dword v0, off, s[44:47], 0 offset:152 ; 4-byte Folded Spill
	s_nop 0
	buffer_store_dword v1, off, s[44:47], 0 offset:156 ; 4-byte Folded Spill
	v_mul_f64 v[0:1], v[203:204], s[20:21]
	v_mul_f64 v[152:153], v[227:228], s[34:35]
	v_fma_f64 v[154:155], v[203:204], s[16:17], -v[136:137]
	v_fma_f64 v[136:137], v[203:204], s[16:17], v[136:137]
	v_add_f64 v[132:133], v[132:133], v[140:141]
	v_add_f64 v[134:135], v[134:135], v[142:143]
	buffer_store_dword v0, off, s[44:47], 0 offset:120 ; 4-byte Folded Spill
	s_nop 0
	buffer_store_dword v1, off, s[44:47], 0 offset:124 ; 4-byte Folded Spill
	v_mul_f64 v[0:1], v[229:230], s[26:27]
	buffer_store_dword v0, off, s[44:47], 0 offset:128 ; 4-byte Folded Spill
	s_nop 0
	buffer_store_dword v1, off, s[44:47], 0 offset:132 ; 4-byte Folded Spill
	buffer_store_dword v240, off, s[44:47], 0 offset:44 ; 4-byte Folded Spill
	s_nop 0
	buffer_store_dword v241, off, s[44:47], 0 offset:48 ; 4-byte Folded Spill
	buffer_store_dword v242, off, s[44:47], 0 offset:52 ; 4-byte Folded Spill
	buffer_store_dword v243, off, s[44:47], 0 offset:56 ; 4-byte Folded Spill
	v_mul_f64 v[240:241], v[225:226], s[26:27]
	v_fma_f64 v[242:243], v[181:182], s[8:9], v[30:31]
	buffer_store_dword v244, off, s[44:47], 0 offset:60 ; 4-byte Folded Spill
	buffer_store_dword v245, off, s[44:47], 0 offset:64 ; 4-byte Folded Spill
	v_mul_f64 v[244:245], v[189:190], s[34:35]
	buffer_store_dword v246, off, s[44:47], 0 offset:68 ; 4-byte Folded Spill
	buffer_store_dword v247, off, s[44:47], 0 offset:72 ; 4-byte Folded Spill
	v_fma_f64 v[246:247], v[173:174], s[28:29], -v[238:239]
	buffer_store_dword v251, off, s[44:47], 0 offset:144 ; 4-byte Folded Spill
	s_nop 0
	buffer_store_dword v252, off, s[44:47], 0 offset:148 ; 4-byte Folded Spill
	buffer_store_dword v175, off, s[44:47], 0 offset:168 ; 4-byte Folded Spill
	s_nop 0
	buffer_store_dword v176, off, s[44:47], 0 offset:172 ; 4-byte Folded Spill
	buffer_store_dword v253, off, s[44:47], 0 offset:160 ; 4-byte Folded Spill
	s_nop 0
	buffer_store_dword v254, off, s[44:47], 0 offset:164 ; 4-byte Folded Spill
	v_mul_f64 v[0:1], v[213:214], s[28:29]
	v_mul_f64 v[251:252], v[205:206], s[26:27]
	;; [unrolled: 1-line block ×3, first 2 shown]
	v_fma_f64 v[253:254], v[197:198], s[20:21], v[240:241]
	v_add_f64 v[236:237], v[242:243], v[236:237]
	v_fma_f64 v[242:243], v[177:178], s[8:9], -v[244:245]
	v_add_f64 v[246:247], v[128:129], v[246:247]
	buffer_store_dword v0, off, s[44:47], 0 offset:136 ; 4-byte Folded Spill
	s_nop 0
	buffer_store_dword v1, off, s[44:47], 0 offset:140 ; 4-byte Folded Spill
	buffer_store_dword v248, off, s[44:47], 0 offset:76 ; 4-byte Folded Spill
	;; [unrolled: 1-line block ×3, first 2 shown]
	s_nop 0
	buffer_store_dword v180, off, s[44:47], 0 offset:180 ; 4-byte Folded Spill
	buffer_store_dword v36, off, s[44:47], 0 offset:192 ; 4-byte Folded Spill
	s_nop 0
	buffer_store_dword v37, off, s[44:47], 0 offset:196 ; 4-byte Folded Spill
	buffer_store_dword v38, off, s[44:47], 0 offset:200 ; 4-byte Folded Spill
	s_nop 0
	buffer_store_dword v39, off, s[44:47], 0 offset:204 ; 4-byte Folded Spill
	v_mul_f64 v[248:249], v[231:232], s[36:37]
	v_mul_f64 v[179:180], v[217:218], s[40:41]
	v_fma_f64 v[36:37], v[209:210], s[10:11], v[175:176]
	v_add_f64 v[38:39], v[253:254], v[236:237]
	v_fma_f64 v[236:237], v[191:192], s[20:21], -v[251:252]
	v_add_f64 v[242:243], v[242:243], v[246:247]
	v_fma_f64 v[238:239], v[173:174], s[28:29], v[238:239]
	v_fma_f64 v[30:31], v[181:182], s[8:9], -v[30:31]
	v_fma_f64 v[253:254], v[221:222], s[16:17], v[248:249]
	v_fma_f64 v[240:241], v[197:198], s[20:21], -v[240:241]
	v_mul_f64 v[246:247], v[227:228], s[36:37]
	v_add_f64 v[36:37], v[36:37], v[38:39]
	v_fma_f64 v[38:39], v[203:204], s[10:11], -v[179:180]
	v_add_f64 v[236:237], v[236:237], v[242:243]
	v_fma_f64 v[242:243], v[177:178], s[8:9], v[244:245]
	v_add_f64 v[238:239], v[128:129], v[238:239]
	v_add_f64 v[28:29], v[30:31], v[28:29]
	v_mul_f64 v[0:1], v[231:232], s[30:31]
	v_fma_f64 v[30:31], v[213:214], s[16:17], -v[246:247]
	v_add_f64 v[253:254], v[253:254], v[36:37]
	v_fma_f64 v[179:180], v[203:204], s[10:11], v[179:180]
	v_add_f64 v[36:37], v[38:39], v[236:237]
	v_fma_f64 v[38:39], v[209:210], s[10:11], -v[175:176]
	v_mul_f64 v[175:176], v[193:194], s[26:27]
	v_fma_f64 v[236:237], v[191:192], s[20:21], v[251:252]
	v_add_f64 v[238:239], v[242:243], v[238:239]
	v_add_f64 v[28:29], v[240:241], v[28:29]
	v_mul_f64 v[240:241], v[207:208], s[38:39]
	v_fma_f64 v[242:243], v[221:222], s[16:17], -v[248:249]
	buffer_store_dword v0, off, s[44:47], 0 offset:184 ; 4-byte Folded Spill
	s_nop 0
	buffer_store_dword v1, off, s[44:47], 0 offset:188 ; 4-byte Folded Spill
	buffer_store_dword v185, off, s[44:47], 0 offset:208 ; 4-byte Folded Spill
	s_nop 0
	buffer_store_dword v186, off, s[44:47], 0 offset:212 ; 4-byte Folded Spill
	v_fma_f64 v[244:245], v[183:184], s[20:21], v[175:176]
	v_add_f64 v[251:252], v[30:31], v[36:37]
	v_add_f64 v[236:237], v[236:237], v[238:239]
	;; [unrolled: 1-line block ×3, first 2 shown]
	v_mul_f64 v[38:39], v[195:196], s[26:27]
	v_mul_f64 v[30:31], v[225:226], s[22:23]
	v_fma_f64 v[36:37], v[181:182], s[16:17], v[240:241]
	v_fma_f64 v[246:247], v[213:214], s[16:17], v[246:247]
	v_add_f64 v[244:245], v[130:131], v[244:245]
	v_fma_f64 v[175:176], v[183:184], s[20:21], -v[175:176]
	v_add_f64 v[179:180], v[179:180], v[236:237]
	v_add_f64 v[238:239], v[242:243], v[28:29]
	v_mul_f64 v[242:243], v[189:190], s[38:39]
	v_fma_f64 v[185:186], v[173:174], s[20:21], -v[38:39]
	v_mul_f64 v[28:29], v[229:230], s[30:31]
	v_fma_f64 v[248:249], v[197:198], s[8:9], v[30:31]
	v_add_f64 v[36:37], v[36:37], v[244:245]
	v_mov_b32_e32 v0, v233
	v_add_f64 v[236:237], v[246:247], v[179:180]
	v_mul_f64 v[179:180], v[205:206], s[22:23]
	v_mov_b32_e32 v1, v234
	v_fma_f64 v[233:234], v[177:178], s[16:17], -v[242:243]
	v_add_f64 v[185:186], v[128:129], v[185:186]
	v_fma_f64 v[38:39], v[173:174], s[20:21], v[38:39]
	v_fma_f64 v[240:241], v[181:182], s[16:17], -v[240:241]
	v_add_f64 v[175:176], v[130:131], v[175:176]
	buffer_store_dword v187, off, s[44:47], 0 offset:220 ; 4-byte Folded Spill
	s_nop 0
	buffer_store_dword v188, off, s[44:47], 0 offset:224 ; 4-byte Folded Spill
	v_mul_f64 v[244:245], v[231:232], s[40:41]
	v_fma_f64 v[246:247], v[209:210], s[28:29], v[28:29]
	v_add_f64 v[36:37], v[248:249], v[36:37]
	v_mul_f64 v[187:188], v[217:218], s[30:31]
	buffer_store_dword v215, off, s[44:47], 0 offset:8 ; 4-byte Folded Spill
	v_mov_b32_e32 v215, v199
	buffer_store_dword v200, off, s[44:47], 0 ; 4-byte Folded Spill
	v_fma_f64 v[199:200], v[191:192], s[8:9], -v[179:180]
	v_add_f64 v[185:186], v[233:234], v[185:186]
	buffer_store_dword v201, off, s[44:47], 0 offset:216 ; 4-byte Folded Spill
	buffer_store_dword v172, off, s[44:47], 0 offset:4 ; 4-byte Folded Spill
	v_mov_b32_e32 v172, v202
	v_fma_f64 v[201:202], v[177:178], s[16:17], v[242:243]
	v_add_f64 v[38:39], v[128:129], v[38:39]
	v_fma_f64 v[30:31], v[197:198], s[8:9], -v[30:31]
	v_add_f64 v[175:176], v[240:241], v[175:176]
	v_fma_f64 v[248:249], v[221:222], s[10:11], v[244:245]
	v_add_f64 v[36:37], v[246:247], v[36:37]
	v_mul_f64 v[233:234], v[227:228], s[40:41]
	v_fma_f64 v[246:247], v[203:204], s[28:29], -v[187:188]
	v_add_f64 v[185:186], v[199:200], v[185:186]
	v_mul_f64 v[199:200], v[193:194], s[36:37]
	v_fma_f64 v[179:180], v[191:192], s[8:9], v[179:180]
	v_add_f64 v[38:39], v[201:202], v[38:39]
	v_fma_f64 v[28:29], v[209:210], s[28:29], -v[28:29]
	v_add_f64 v[30:31], v[30:31], v[175:176]
	s_mov_b32 s31, 0x3fd207e7
	v_add_f64 v[242:243], v[248:249], v[36:37]
	v_fma_f64 v[36:37], v[213:214], s[10:11], -v[233:234]
	v_add_f64 v[175:176], v[246:247], v[185:186]
	v_mul_f64 v[185:186], v[207:208], s[30:31]
	v_fma_f64 v[201:202], v[183:184], s[16:17], v[199:200]
	v_fma_f64 v[187:188], v[203:204], s[28:29], v[187:188]
	v_add_f64 v[38:39], v[179:180], v[38:39]
	v_fma_f64 v[179:180], v[221:222], s[10:11], -v[244:245]
	v_add_f64 v[28:29], v[28:29], v[30:31]
	v_mul_f64 v[30:31], v[225:226], s[40:41]
	v_add_f64 v[240:241], v[36:37], v[175:176]
	v_fma_f64 v[36:37], v[181:182], s[28:29], v[185:186]
	v_add_f64 v[175:176], v[130:131], v[201:202]
	v_fma_f64 v[201:202], v[213:214], s[10:11], v[233:234]
	v_add_f64 v[38:39], v[187:188], v[38:39]
	v_mul_f64 v[187:188], v[229:230], s[22:23]
	v_add_f64 v[246:247], v[179:180], v[28:29]
	v_mul_f64 v[28:29], v[195:196], s[36:37]
	v_fma_f64 v[179:180], v[197:198], s[10:11], v[30:31]
	v_fma_f64 v[199:200], v[183:184], s[16:17], -v[199:200]
	v_add_f64 v[36:37], v[36:37], v[175:176]
	v_mul_f64 v[175:176], v[231:232], s[26:27]
	v_add_f64 v[244:245], v[201:202], v[38:39]
	v_mul_f64 v[201:202], v[189:190], s[30:31]
	v_fma_f64 v[38:39], v[209:210], s[8:9], v[187:188]
	v_fma_f64 v[233:234], v[173:174], s[16:17], -v[28:29]
	v_fma_f64 v[185:186], v[181:182], s[28:29], -v[185:186]
	v_add_f64 v[199:200], v[130:131], v[199:200]
	v_add_f64 v[36:37], v[179:180], v[36:37]
	v_mul_f64 v[248:249], v[205:206], s[40:41]
	v_fma_f64 v[28:29], v[173:174], s[16:17], v[28:29]
	v_fma_f64 v[211:212], v[177:178], s[28:29], -v[201:202]
	v_fma_f64 v[179:180], v[221:222], s[20:21], v[175:176]
	v_add_f64 v[233:234], v[128:129], v[233:234]
	v_fma_f64 v[30:31], v[197:198], s[10:11], -v[30:31]
	v_add_f64 v[185:186], v[185:186], v[199:200]
	v_add_f64 v[36:37], v[38:39], v[36:37]
	v_mul_f64 v[38:39], v[217:218], s[22:23]
	v_fma_f64 v[199:200], v[177:178], s[28:29], v[201:202]
	v_add_f64 v[28:29], v[128:129], v[28:29]
	v_fma_f64 v[201:202], v[191:192], s[10:11], -v[248:249]
	v_add_f64 v[211:212], v[211:212], v[233:234]
	v_mul_f64 v[195:196], v[195:196], s[24:25]
	v_add_f64 v[185:186], v[30:31], v[185:186]
	v_add_f64 v[30:31], v[179:180], v[36:37]
	v_fma_f64 v[179:180], v[191:192], s[10:11], v[248:249]
	v_mul_f64 v[189:190], v[189:190], s[26:27]
	v_add_f64 v[28:29], v[199:200], v[28:29]
	v_fma_f64 v[199:200], v[203:204], s[8:9], -v[38:39]
	v_add_f64 v[201:202], v[201:202], v[211:212]
	v_mul_f64 v[148:149], v[205:206], s[30:31]
	v_fma_f64 v[38:39], v[203:204], s[8:9], v[38:39]
	v_mov_b32_e32 v234, v1
	v_mov_b32_e32 v233, v0
	v_fma_f64 v[150:151], v[177:178], s[20:21], -v[189:190]
	v_add_f64 v[28:29], v[179:180], v[28:29]
	v_mul_f64 v[179:180], v[231:232], s[34:35]
	v_add_f64 v[199:200], v[199:200], v[201:202]
	v_mul_f64 v[201:202], v[207:208], s[26:27]
	v_fma_f64 v[231:232], v[173:174], s[10:11], -v[195:196]
	v_mul_f64 v[207:208], v[225:226], s[30:31]
	v_fma_f64 v[138:139], v[191:192], s[28:29], -v[148:149]
	buffer_load_dword v248, off, s[44:47], 0 offset:76 ; 4-byte Folded Reload
	v_add_f64 v[28:29], v[38:39], v[28:29]
	v_fma_f64 v[38:39], v[221:222], s[8:9], v[179:180]
	v_fma_f64 v[142:143], v[173:174], s[10:11], v[195:196]
	;; [unrolled: 1-line block ×3, first 2 shown]
	v_fma_f64 v[181:182], v[181:182], s[20:21], -v[201:202]
	v_add_f64 v[201:202], v[128:129], v[231:232]
	v_fma_f64 v[173:174], v[177:178], s[20:21], v[189:190]
	v_fma_f64 v[187:188], v[209:210], s[8:9], -v[187:188]
	v_fma_f64 v[175:176], v[221:222], s[20:21], -v[175:176]
	v_add_f64 v[132:133], v[132:133], v[156:157]
	v_add_f64 v[134:135], v[134:135], v[158:159]
	v_mul_f64 v[36:37], v[227:228], s[26:27]
	v_mov_b32_e32 v249, v3
	v_add_f64 v[150:151], v[150:151], v[201:202]
	v_mov_b32_e32 v202, v172
	buffer_load_dword v172, off, s[44:47], 0 offset:4 ; 4-byte Folded Reload
	v_add_f64 v[185:186], v[187:188], v[185:186]
	v_mul_f64 v[187:188], v[193:194], s[24:25]
	v_add_f64 v[132:133], v[132:133], v[144:145]
	v_add_f64 v[134:135], v[134:135], v[146:147]
	v_fma_f64 v[211:212], v[213:214], s[20:21], -v[36:37]
	v_add_f64 v[138:139], v[138:139], v[150:151]
	v_fma_f64 v[150:151], v[221:222], s[8:9], -v[179:180]
	buffer_load_dword v0, off, s[44:47], 0 offset:112 ; 4-byte Folded Reload
	buffer_load_dword v1, off, s[44:47], 0 offset:116 ; 4-byte Folded Reload
	;; [unrolled: 1-line block ×4, first 2 shown]
	v_add_f64 v[193:194], v[175:176], v[185:186]
	v_fma_f64 v[175:176], v[183:184], s[10:11], v[187:188]
	v_fma_f64 v[183:184], v[183:184], s[10:11], -v[187:188]
	v_fma_f64 v[36:37], v[213:214], s[20:21], v[36:37]
	v_fma_f64 v[187:188], v[197:198], s[28:29], v[207:208]
	v_mul_f64 v[185:186], v[229:230], s[38:39]
	v_add_f64 v[134:135], v[134:135], v[166:167]
	v_add_f64 v[132:133], v[132:133], v[164:165]
	v_add_f64 v[138:139], v[154:155], v[138:139]
	v_add_f64 v[175:176], v[130:131], v[175:176]
	v_add_f64 v[183:184], v[130:131], v[183:184]
	v_fma_f64 v[229:230], v[209:210], s[16:17], v[185:186]
	v_add_f64 v[134:135], v[134:135], v[162:163]
	v_add_f64 v[175:176], v[225:226], v[175:176]
	;; [unrolled: 1-line block ×3, first 2 shown]
	v_fma_f64 v[183:184], v[209:210], s[16:17], -v[185:186]
	v_add_f64 v[175:176], v[187:188], v[175:176]
	v_fma_f64 v[187:188], v[197:198], s[28:29], -v[207:208]
	v_add_f64 v[175:176], v[229:230], v[175:176]
	v_add_f64 v[181:182], v[187:188], v[181:182]
	;; [unrolled: 1-line block ×3, first 2 shown]
	s_waitcnt vmcnt(0)
	v_add_f64 v[179:180], v[179:180], -v[0:1]
	buffer_load_dword v0, off, s[44:47], 0 offset:96 ; 4-byte Folded Reload
	buffer_load_dword v1, off, s[44:47], 0 offset:100 ; 4-byte Folded Reload
	;; [unrolled: 1-line block ×4, first 2 shown]
	v_add_f64 v[130:131], v[130:131], v[179:180]
	s_waitcnt vmcnt(0)
	v_add_f64 v[140:141], v[0:1], v[140:141]
	buffer_load_dword v0, off, s[44:47], 0 offset:104 ; 4-byte Folded Reload
	buffer_load_dword v1, off, s[44:47], 0 offset:108 ; 4-byte Folded Reload
	;; [unrolled: 1-line block ×4, first 2 shown]
	v_add_f64 v[140:141], v[128:129], v[140:141]
	v_add_f64 v[128:129], v[128:129], v[142:143]
	v_fma_f64 v[142:143], v[191:192], s[28:29], v[148:149]
	v_add_f64 v[191:192], v[36:37], v[28:29]
	v_add_f64 v[28:29], v[211:212], v[199:200]
	v_mov_b32_e32 v199, v215
	v_mov_b32_e32 v211, v216
	;; [unrolled: 1-line block ×4, first 2 shown]
	v_add_f64 v[128:129], v[173:174], v[128:129]
	v_add_f64 v[128:129], v[142:143], v[128:129]
	v_fma_f64 v[142:143], v[213:214], s[8:9], v[152:153]
	v_fma_f64 v[152:153], v[213:214], s[8:9], -v[152:153]
	v_add_f64 v[138:139], v[152:153], v[138:139]
	s_waitcnt vmcnt(0)
	v_add_f64 v[177:178], v[177:178], -v[0:1]
	buffer_load_dword v0, off, s[44:47], 0 offset:88 ; 4-byte Folded Reload
	buffer_load_dword v1, off, s[44:47], 0 offset:92 ; 4-byte Folded Reload
	;; [unrolled: 1-line block ×4, first 2 shown]
	v_add_f64 v[130:131], v[177:178], v[130:131]
	s_waitcnt vmcnt(0)
	v_add_f64 v[179:180], v[0:1], v[179:180]
	buffer_load_dword v0, off, s[44:47], 0 offset:152 ; 4-byte Folded Reload
	buffer_load_dword v1, off, s[44:47], 0 offset:156 ; 4-byte Folded Reload
	;; [unrolled: 1-line block ×4, first 2 shown]
	v_add_f64 v[140:141], v[179:180], v[140:141]
	s_waitcnt vmcnt(0)
	v_add_f64 v[148:149], v[148:149], -v[0:1]
	buffer_load_dword v0, off, s[44:47], 0 offset:80 ; 4-byte Folded Reload
	buffer_load_dword v1, off, s[44:47], 0 offset:84 ; 4-byte Folded Reload
	;; [unrolled: 1-line block ×4, first 2 shown]
	v_add_f64 v[130:131], v[148:149], v[130:131]
	s_waitcnt vmcnt(0)
	v_add_f64 v[156:157], v[0:1], v[156:157]
	buffer_load_dword v0, off, s[44:47], 0 offset:128 ; 4-byte Folded Reload
	buffer_load_dword v1, off, s[44:47], 0 offset:132 ; 4-byte Folded Reload
	;; [unrolled: 1-line block ×4, first 2 shown]
	v_add_f64 v[140:141], v[156:157], v[140:141]
	v_add_f64 v[156:157], v[132:133], v[160:161]
	s_waitcnt vmcnt(0)
	v_add_f64 v[144:145], v[144:145], -v[0:1]
	buffer_load_dword v0, off, s[44:47], 0 offset:120 ; 4-byte Folded Reload
	buffer_load_dword v1, off, s[44:47], 0 offset:124 ; 4-byte Folded Reload
	;; [unrolled: 1-line block ×4, first 2 shown]
	v_add_f64 v[130:131], v[144:145], v[130:131]
	s_waitcnt vmcnt(0)
	v_add_f64 v[146:147], v[0:1], v[146:147]
	buffer_load_dword v0, off, s[44:47], 0 offset:184 ; 4-byte Folded Reload
	buffer_load_dword v1, off, s[44:47], 0 offset:188 ; 4-byte Folded Reload
	v_add_f64 v[140:141], v[146:147], v[140:141]
	v_add_f64 v[146:147], v[136:137], v[128:129]
	;; [unrolled: 1-line block ×6, first 2 shown]
	s_waitcnt vmcnt(0)
	v_add_f64 v[148:149], v[223:224], -v[0:1]
	buffer_load_dword v0, off, s[44:47], 0 offset:136 ; 4-byte Folded Reload
	buffer_load_dword v1, off, s[44:47], 0 offset:140 ; 4-byte Folded Reload
	buffer_load_dword v200, off, s[44:47], 0 ; 4-byte Folded Reload
	buffer_load_dword v215, off, s[44:47], 0 offset:8 ; 4-byte Folded Reload
	v_add_f64 v[132:133], v[148:149], v[130:131]
	s_waitcnt vmcnt(2)
	v_add_f64 v[144:145], v[0:1], v[219:220]
	buffer_load_dword v0, off, s[44:47], 0 offset:216 ; 4-byte Folded Reload
	v_add_f64 v[130:131], v[144:145], v[140:141]
	v_add_f64 v[140:141], v[38:39], v[175:176]
	s_waitcnt vmcnt(0)
	v_lshlrev_b32_e32 v36, 4, v0
	ds_write_b128 v36, v[134:137]
	ds_write_b128 v36, v[130:133] offset:16
	ds_write_b128 v36, v[126:129] offset:32
	;; [unrolled: 1-line block ×4, first 2 shown]
	buffer_load_dword v247, off, s[44:47], 0 offset:72 ; 4-byte Folded Reload
	buffer_load_dword v246, off, s[44:47], 0 offset:68 ; 4-byte Folded Reload
	;; [unrolled: 1-line block ×4, first 2 shown]
	ds_write_b128 v36, v[236:239] offset:80
	buffer_load_dword v236, off, s[44:47], 0 offset:28 ; 4-byte Folded Reload
	buffer_load_dword v237, off, s[44:47], 0 offset:32 ; 4-byte Folded Reload
	;; [unrolled: 1-line block ×8, first 2 shown]
	ds_write_b128 v36, v[251:254] offset:96
	ds_write_b128 v36, v[240:243] offset:112
	buffer_load_dword v240, off, s[44:47], 0 offset:44 ; 4-byte Folded Reload
	buffer_load_dword v241, off, s[44:47], 0 offset:48 ; 4-byte Folded Reload
	;; [unrolled: 1-line block ×4, first 2 shown]
	ds_write_b128 v36, v[28:31] offset:128
	ds_write_b128 v36, v[138:141] offset:144
	;; [unrolled: 1-line block ×3, first 2 shown]
.LBB0_21:
	s_or_b64 exec, exec, s[18:19]
	s_waitcnt vmcnt(0) lgkmcnt(0)
	s_barrier
	ds_read_b128 v[28:31], v235 offset:15840
	ds_read_b128 v[124:127], v235
	ds_read_b128 v[128:131], v235 offset:3168
	ds_read_b128 v[132:135], v235 offset:19008
	;; [unrolled: 1-line block ×4, first 2 shown]
	s_waitcnt lgkmcnt(5)
	v_mul_f64 v[36:37], v[14:15], v[30:31]
	v_mul_f64 v[14:15], v[14:15], v[28:29]
	s_waitcnt lgkmcnt(2)
	v_mul_f64 v[38:39], v[18:19], v[134:135]
	v_mul_f64 v[18:19], v[18:19], v[132:133]
	ds_read_b128 v[144:147], v235 offset:6336
	ds_read_b128 v[148:151], v235 offset:9504
	;; [unrolled: 1-line block ×4, first 2 shown]
	s_waitcnt lgkmcnt(0)
	s_barrier
	v_fma_f64 v[28:29], v[12:13], v[28:29], v[36:37]
	v_fma_f64 v[12:13], v[12:13], v[30:31], -v[14:15]
	v_fma_f64 v[14:15], v[16:17], v[132:133], v[38:39]
	v_fma_f64 v[16:17], v[16:17], v[134:135], -v[18:19]
	v_mul_f64 v[18:19], v[6:7], v[138:139]
	v_mul_f64 v[6:7], v[6:7], v[136:137]
	;; [unrolled: 1-line block ×6, first 2 shown]
	v_add_f64 v[10:11], v[124:125], -v[28:29]
	v_add_f64 v[12:13], v[126:127], -v[12:13]
	v_fma_f64 v[18:19], v[4:5], v[136:137], v[18:19]
	v_fma_f64 v[132:133], v[4:5], v[138:139], -v[6:7]
	v_fma_f64 v[134:135], v[0:1], v[152:153], v[30:31]
	v_fma_f64 v[0:1], v[0:1], v[154:155], -v[2:3]
	;; [unrolled: 2-line block ×3, first 2 shown]
	v_add_f64 v[14:15], v[128:129], -v[14:15]
	v_add_f64 v[16:17], v[130:131], -v[16:17]
	;; [unrolled: 1-line block ×4, first 2 shown]
	v_fma_f64 v[4:5], v[124:125], 2.0, -v[10:11]
	v_fma_f64 v[6:7], v[126:127], 2.0, -v[12:13]
	v_add_f64 v[124:125], v[148:149], -v[134:135]
	v_add_f64 v[126:127], v[150:151], -v[0:1]
	;; [unrolled: 1-line block ×4, first 2 shown]
	v_fma_f64 v[128:129], v[128:129], 2.0, -v[14:15]
	v_fma_f64 v[130:131], v[130:131], 2.0, -v[16:17]
	;; [unrolled: 1-line block ×8, first 2 shown]
	ds_write_b128 v234, v[4:7]
	ds_write_b128 v234, v[10:13] offset:176
	ds_write_b128 v216, v[128:131]
	ds_write_b128 v216, v[14:17] offset:176
	;; [unrolled: 2-line block ×5, first 2 shown]
	s_waitcnt lgkmcnt(0)
	s_barrier
	ds_read_b128 v[12:15], v235
	ds_read_b128 v[8:11], v235 offset:3168
	ds_read_b128 v[132:135], v235 offset:21120
	;; [unrolled: 1-line block ×8, first 2 shown]
	s_and_saveexec_b64 s[8:9], s[2:3]
	s_cbranch_execz .LBB0_23
; %bb.22:
	ds_read_b128 v[0:3], v235 offset:9504
	ds_read_b128 v[168:171], v235 offset:20064
	;; [unrolled: 1-line block ×3, first 2 shown]
.LBB0_23:
	s_or_b64 exec, exec, s[8:9]
	s_waitcnt lgkmcnt(4)
	v_mul_f64 v[28:29], v[58:59], v[142:143]
	v_mul_f64 v[30:31], v[58:59], v[140:141]
	;; [unrolled: 1-line block ×4, first 2 shown]
	s_waitcnt lgkmcnt(2)
	v_mul_f64 v[54:55], v[26:27], v[138:139]
	v_mul_f64 v[26:27], v[26:27], v[136:137]
	;; [unrolled: 1-line block ×4, first 2 shown]
	v_fma_f64 v[28:29], v[56:57], v[140:141], v[28:29]
	v_fma_f64 v[30:31], v[56:57], v[142:143], -v[30:31]
	v_fma_f64 v[36:37], v[52:53], v[132:133], v[36:37]
	s_waitcnt lgkmcnt(1)
	v_mul_f64 v[56:57], v[42:43], v[130:131]
	v_fma_f64 v[38:39], v[52:53], v[134:135], -v[38:39]
	v_mul_f64 v[42:43], v[42:43], v[128:129]
	v_fma_f64 v[52:53], v[24:25], v[136:137], v[54:55]
	v_fma_f64 v[24:25], v[24:25], v[138:139], -v[26:27]
	v_fma_f64 v[26:27], v[20:21], v[124:125], v[58:59]
	s_waitcnt lgkmcnt(0)
	v_mul_f64 v[54:55], v[34:35], v[18:19]
	v_fma_f64 v[58:59], v[20:21], v[126:127], -v[22:23]
	v_mul_f64 v[20:21], v[34:35], v[16:17]
	v_fma_f64 v[56:57], v[40:41], v[128:129], v[56:57]
	v_fma_f64 v[42:43], v[40:41], v[130:131], -v[42:43]
	v_mul_f64 v[22:23], v[50:51], v[170:171]
	v_mul_f64 v[34:35], v[50:51], v[168:169]
	v_add_f64 v[40:41], v[28:29], v[36:37]
	v_fma_f64 v[50:51], v[32:33], v[16:17], v[54:55]
	v_mul_f64 v[16:17], v[46:47], v[122:123]
	v_fma_f64 v[54:55], v[32:33], v[18:19], -v[20:21]
	v_add_f64 v[18:19], v[12:13], v[28:29]
	v_add_f64 v[32:33], v[30:31], v[38:39]
	v_mul_f64 v[46:47], v[46:47], v[120:121]
	v_fma_f64 v[124:125], v[48:49], v[168:169], v[22:23]
	v_fma_f64 v[20:21], v[40:41], -0.5, v[12:13]
	v_fma_f64 v[126:127], v[48:49], v[170:171], -v[34:35]
	v_add_f64 v[22:23], v[30:31], -v[38:39]
	v_add_f64 v[28:29], v[28:29], -v[36:37]
	v_add_f64 v[12:13], v[18:19], v[36:37]
	v_add_f64 v[18:19], v[14:15], v[30:31]
	;; [unrolled: 1-line block ×3, first 2 shown]
	v_fma_f64 v[32:33], v[32:33], -0.5, v[14:15]
	v_add_f64 v[34:35], v[24:25], v[58:59]
	v_add_f64 v[36:37], v[8:9], v[52:53]
	v_fma_f64 v[120:121], v[44:45], v[120:121], v[16:17]
	v_fma_f64 v[122:123], v[44:45], v[122:123], -v[46:47]
	v_add_f64 v[40:41], v[10:11], v[24:25]
	v_add_f64 v[14:15], v[18:19], v[38:39]
	;; [unrolled: 1-line block ×3, first 2 shown]
	v_fma_f64 v[8:9], v[30:31], -0.5, v[8:9]
	v_add_f64 v[30:31], v[24:25], -v[58:59]
	v_fma_f64 v[10:11], v[34:35], -0.5, v[10:11]
	v_add_f64 v[34:35], v[52:53], -v[26:27]
	v_add_f64 v[24:25], v[36:37], v[26:27]
	v_add_f64 v[36:37], v[4:5], v[56:57]
	s_mov_b32 s8, 0xe8584caa
	v_fma_f64 v[4:5], v[38:39], -0.5, v[4:5]
	v_add_f64 v[38:39], v[42:43], -v[54:55]
	s_mov_b32 s9, 0xbfebb67a
	s_mov_b32 s11, 0x3febb67a
	;; [unrolled: 1-line block ×3, first 2 shown]
	v_fma_f64 v[16:17], v[22:23], s[8:9], v[20:21]
	v_fma_f64 v[20:21], v[22:23], s[10:11], v[20:21]
	;; [unrolled: 1-line block ×7, first 2 shown]
	v_add_f64 v[8:9], v[42:43], v[54:55]
	v_fma_f64 v[34:35], v[34:35], s[8:9], v[10:11]
	v_add_f64 v[10:11], v[124:125], v[120:121]
	v_fma_f64 v[44:45], v[38:39], s[8:9], v[4:5]
	v_fma_f64 v[48:49], v[38:39], s[10:11], v[4:5]
	v_add_f64 v[4:5], v[126:127], v[122:123]
	v_add_f64 v[26:27], v[40:41], v[58:59]
	v_add_f64 v[40:41], v[36:37], v[50:51]
	v_add_f64 v[36:37], v[6:7], v[42:43]
	v_fma_f64 v[6:7], v[8:9], -0.5, v[6:7]
	v_add_f64 v[8:9], v[56:57], -v[50:51]
	v_add_f64 v[38:39], v[0:1], v[124:125]
	v_fma_f64 v[10:11], v[10:11], -0.5, v[0:1]
	v_add_f64 v[52:53], v[126:127], -v[122:123]
	v_add_f64 v[56:57], v[2:3], v[126:127]
	;; [unrolled: 3-line block ×3, first 2 shown]
	v_fma_f64 v[46:47], v[8:9], s[10:11], v[6:7]
	v_fma_f64 v[50:51], v[8:9], s[8:9], v[6:7]
	v_add_f64 v[0:1], v[38:39], v[120:121]
	v_fma_f64 v[4:5], v[52:53], s[8:9], v[10:11]
	v_fma_f64 v[8:9], v[52:53], s[10:11], v[10:11]
	v_add_f64 v[2:3], v[56:57], v[122:123]
	v_fma_f64 v[6:7], v[124:125], s[10:11], v[58:59]
	v_fma_f64 v[10:11], v[124:125], s[8:9], v[58:59]
	s_barrier
	ds_write_b128 v244, v[12:15]
	ds_write_b128 v244, v[16:19] offset:352
	ds_write_b128 v244, v[20:23] offset:704
	ds_write_b128 v245, v[24:27]
	ds_write_b128 v245, v[28:31] offset:352
	ds_write_b128 v245, v[32:35] offset:704
	;; [unrolled: 3-line block ×3, first 2 shown]
	s_and_saveexec_b64 s[8:9], s[2:3]
	s_cbranch_execz .LBB0_25
; %bb.24:
	s_movk_i32 s10, 0x42
	v_mad_legacy_u16 v12, v200, s10, v202
	v_lshlrev_b32_e32 v12, 4, v12
	ds_write_b128 v12, v[0:3]
	ds_write_b128 v12, v[4:7] offset:352
	ds_write_b128 v12, v[8:11] offset:704
.LBB0_25:
	s_or_b64 exec, exec, s[8:9]
	s_waitcnt lgkmcnt(0)
	s_barrier
	ds_read_b128 v[20:23], v235
	ds_read_b128 v[16:19], v235 offset:3168
	ds_read_b128 v[48:51], v235 offset:21120
	ds_read_b128 v[32:35], v235 offset:24288
	ds_read_b128 v[52:55], v235 offset:10560
	ds_read_b128 v[12:15], v235 offset:6336
	ds_read_b128 v[44:47], v235 offset:13728
	ds_read_b128 v[40:43], v235 offset:16896
	ds_read_b128 v[24:27], v235 offset:27456
	s_and_saveexec_b64 s[8:9], s[2:3]
	s_cbranch_execz .LBB0_27
; %bb.26:
	ds_read_b128 v[0:3], v235 offset:9504
	ds_read_b128 v[4:7], v235 offset:20064
	;; [unrolled: 1-line block ×3, first 2 shown]
.LBB0_27:
	s_or_b64 exec, exec, s[8:9]
	s_waitcnt lgkmcnt(4)
	v_mul_f64 v[28:29], v[66:67], v[54:55]
	v_mul_f64 v[30:31], v[62:63], v[50:51]
	;; [unrolled: 1-line block ×5, first 2 shown]
	s_waitcnt lgkmcnt(2)
	v_mul_f64 v[56:57], v[82:83], v[46:47]
	v_mul_f64 v[58:59], v[82:83], v[44:45]
	s_waitcnt lgkmcnt(1)
	v_mul_f64 v[66:67], v[86:87], v[40:41]
	v_fma_f64 v[28:29], v[64:65], v[52:53], v[28:29]
	v_fma_f64 v[30:31], v[60:61], v[48:49], v[30:31]
	v_fma_f64 v[36:37], v[64:65], v[54:55], -v[36:37]
	v_fma_f64 v[38:39], v[60:61], v[50:51], -v[38:39]
	v_mul_f64 v[48:49], v[78:79], v[32:33]
	v_mul_f64 v[52:53], v[86:87], v[42:43]
	v_fma_f64 v[54:55], v[76:77], v[32:33], v[62:63]
	s_waitcnt lgkmcnt(0)
	v_mul_f64 v[78:79], v[70:71], v[26:27]
	v_add_f64 v[32:33], v[20:21], v[28:29]
	v_add_f64 v[50:51], v[28:29], v[30:31]
	v_mul_f64 v[70:71], v[70:71], v[24:25]
	v_fma_f64 v[44:45], v[80:81], v[44:45], v[56:57]
	v_add_f64 v[56:57], v[36:37], v[38:39]
	v_fma_f64 v[46:47], v[80:81], v[46:47], -v[58:59]
	v_fma_f64 v[34:35], v[76:77], v[34:35], -v[48:49]
	v_fma_f64 v[48:49], v[84:85], v[40:41], v[52:53]
	v_fma_f64 v[42:43], v[84:85], v[42:43], -v[66:67]
	v_fma_f64 v[40:41], v[50:51], -0.5, v[20:21]
	v_add_f64 v[20:21], v[32:33], v[30:31]
	v_add_f64 v[32:33], v[22:23], v[36:37]
	v_fma_f64 v[58:59], v[68:69], v[26:27], -v[70:71]
	v_add_f64 v[26:27], v[44:45], v[54:55]
	v_add_f64 v[50:51], v[36:37], -v[38:39]
	v_fma_f64 v[52:53], v[68:69], v[24:25], v[78:79]
	v_fma_f64 v[36:37], v[56:57], -0.5, v[22:23]
	v_add_f64 v[30:31], v[28:29], -v[30:31]
	s_mov_b32 s8, 0xe8584caa
	v_add_f64 v[22:23], v[32:33], v[38:39]
	v_add_f64 v[38:39], v[46:47], v[34:35]
	s_mov_b32 s9, 0xbfebb67a
	s_mov_b32 s10, s8
	v_add_f64 v[56:57], v[16:17], v[44:45]
	v_fma_f64 v[60:61], v[26:27], -0.5, v[16:17]
	v_add_f64 v[62:63], v[46:47], -v[34:35]
	v_fma_f64 v[24:25], v[50:51], s[8:9], v[40:41]
	v_fma_f64 v[28:29], v[50:51], s[10:11], v[40:41]
	;; [unrolled: 1-line block ×4, first 2 shown]
	v_add_f64 v[36:37], v[48:49], v[52:53]
	v_add_f64 v[50:51], v[42:43], v[58:59]
	;; [unrolled: 1-line block ×3, first 2 shown]
	v_fma_f64 v[38:39], v[38:39], -0.5, v[18:19]
	v_add_f64 v[44:45], v[44:45], -v[54:55]
	v_add_f64 v[16:17], v[56:57], v[54:55]
	v_fma_f64 v[32:33], v[62:63], s[8:9], v[60:61]
	v_fma_f64 v[40:41], v[62:63], s[10:11], v[60:61]
	v_add_f64 v[54:55], v[12:13], v[48:49]
	v_add_f64 v[60:61], v[14:15], v[42:43]
	v_fma_f64 v[36:37], v[36:37], -0.5, v[12:13]
	v_add_f64 v[56:57], v[42:43], -v[58:59]
	v_fma_f64 v[50:51], v[50:51], -0.5, v[14:15]
	v_add_f64 v[62:63], v[48:49], -v[52:53]
	v_add_f64 v[18:19], v[46:47], v[34:35]
	v_fma_f64 v[34:35], v[44:45], s[10:11], v[38:39]
	v_fma_f64 v[42:43], v[44:45], s[8:9], v[38:39]
	v_add_f64 v[12:13], v[54:55], v[52:53]
	v_add_f64 v[14:15], v[60:61], v[58:59]
	v_fma_f64 v[44:45], v[56:57], s[8:9], v[36:37]
	v_fma_f64 v[48:49], v[56:57], s[10:11], v[36:37]
	;; [unrolled: 1-line block ×4, first 2 shown]
	s_barrier
	ds_write_b128 v248, v[20:23]
	ds_write_b128 v248, v[24:27] offset:1056
	ds_write_b128 v248, v[28:31] offset:2112
	ds_write_b128 v249, v[16:19]
	ds_write_b128 v249, v[32:35] offset:1056
	ds_write_b128 v249, v[40:43] offset:2112
	;; [unrolled: 3-line block ×3, first 2 shown]
	s_and_saveexec_b64 s[16:17], s[2:3]
	s_cbranch_execz .LBB0_29
; %bb.28:
	v_mul_f64 v[12:13], v[242:243], v[4:5]
	v_mul_f64 v[14:15], v[238:239], v[8:9]
	;; [unrolled: 1-line block ×4, first 2 shown]
	v_fma_f64 v[6:7], v[240:241], v[6:7], -v[12:13]
	v_fma_f64 v[10:11], v[236:237], v[10:11], -v[14:15]
	v_fma_f64 v[4:5], v[240:241], v[4:5], v[16:17]
	v_fma_f64 v[8:9], v[236:237], v[8:9], v[18:19]
	v_add_f64 v[18:19], v[2:3], v[6:7]
	v_add_f64 v[12:13], v[6:7], v[10:11]
	v_add_f64 v[20:21], v[6:7], -v[10:11]
	v_add_f64 v[14:15], v[4:5], v[8:9]
	v_add_f64 v[16:17], v[4:5], -v[8:9]
	v_add_f64 v[4:5], v[0:1], v[4:5]
	v_fma_f64 v[12:13], v[12:13], -0.5, v[2:3]
	v_add_f64 v[2:3], v[18:19], v[10:11]
	v_fma_f64 v[14:15], v[14:15], -0.5, v[0:1]
	v_add_f64 v[0:1], v[4:5], v[8:9]
	v_fma_f64 v[10:11], v[16:17], s[10:11], v[12:13]
	v_fma_f64 v[6:7], v[16:17], s[8:9], v[12:13]
	;; [unrolled: 1-line block ×4, first 2 shown]
	ds_write_b128 v247, v[0:3] offset:28512
	ds_write_b128 v247, v[8:11] offset:29568
	;; [unrolled: 1-line block ×3, first 2 shown]
.LBB0_29:
	s_or_b64 exec, exec, s[16:17]
	s_waitcnt lgkmcnt(0)
	s_barrier
	ds_read_b128 v[0:3], v235
	ds_read_b128 v[4:7], v235 offset:3168
	ds_read_b128 v[8:11], v235 offset:6336
	;; [unrolled: 1-line block ×7, first 2 shown]
	s_waitcnt lgkmcnt(5)
	v_mul_f64 v[40:41], v[98:99], v[10:11]
	v_mul_f64 v[42:43], v[98:99], v[8:9]
	s_waitcnt lgkmcnt(3)
	v_mul_f64 v[44:45], v[94:95], v[18:19]
	s_waitcnt lgkmcnt(1)
	v_mul_f64 v[48:49], v[90:91], v[26:27]
	ds_read_b128 v[32:35], v235 offset:25344
	ds_read_b128 v[36:39], v235 offset:28512
	v_mul_f64 v[46:47], v[94:95], v[16:17]
	v_mul_f64 v[50:51], v[90:91], v[24:25]
	s_mov_b32 s2, 0x134454ff
	v_fma_f64 v[40:41], v[96:97], v[8:9], v[40:41]
	s_waitcnt lgkmcnt(1)
	v_mul_f64 v[8:9], v[74:75], v[34:35]
	v_mul_f64 v[52:53], v[74:75], v[32:33]
	v_fma_f64 v[42:43], v[96:97], v[10:11], -v[42:43]
	v_fma_f64 v[10:11], v[92:93], v[16:17], v[44:45]
	v_fma_f64 v[16:17], v[88:89], v[24:25], v[48:49]
	v_fma_f64 v[24:25], v[88:89], v[26:27], -v[50:51]
	v_mul_f64 v[26:27], v[98:99], v[14:15]
	v_mul_f64 v[44:45], v[94:95], v[22:23]
	v_fma_f64 v[32:33], v[72:73], v[32:33], v[8:9]
	v_fma_f64 v[34:35], v[72:73], v[34:35], -v[52:53]
	v_mul_f64 v[8:9], v[98:99], v[12:13]
	v_fma_f64 v[18:19], v[92:93], v[18:19], -v[46:47]
	v_add_f64 v[50:51], v[10:11], v[16:17]
	v_add_f64 v[46:47], v[0:1], v[40:41]
	v_mul_f64 v[48:49], v[94:95], v[20:21]
	v_fma_f64 v[26:27], v[96:97], v[12:13], v[26:27]
	v_mul_f64 v[12:13], v[90:91], v[30:31]
	v_fma_f64 v[44:45], v[92:93], v[20:21], v[44:45]
	v_fma_f64 v[54:55], v[96:97], v[14:15], -v[8:9]
	v_add_f64 v[20:21], v[42:43], -v[34:35]
	v_fma_f64 v[14:15], v[50:51], -0.5, v[0:1]
	s_mov_b32 s3, 0xbfee6f0e
	v_mul_f64 v[52:53], v[90:91], v[28:29]
	v_add_f64 v[8:9], v[46:47], v[10:11]
	v_fma_f64 v[46:47], v[92:93], v[22:23], -v[48:49]
	v_fma_f64 v[28:29], v[88:89], v[28:29], v[12:13]
	s_waitcnt lgkmcnt(0)
	v_mul_f64 v[12:13], v[74:75], v[38:39]
	v_add_f64 v[50:51], v[18:19], -v[24:25]
	v_fma_f64 v[48:49], v[20:21], s[2:3], v[14:15]
	v_add_f64 v[58:59], v[40:41], v[32:33]
	s_mov_b32 s10, 0x4755a5e
	s_mov_b32 s11, 0xbfe2cf23
	;; [unrolled: 1-line block ×4, first 2 shown]
	v_fma_f64 v[30:31], v[88:89], v[30:31], -v[52:53]
	v_mul_f64 v[22:23], v[74:75], v[36:37]
	v_add_f64 v[52:53], v[40:41], -v[10:11]
	v_add_f64 v[56:57], v[32:33], -v[16:17]
	v_fma_f64 v[36:37], v[72:73], v[36:37], v[12:13]
	v_fma_f64 v[12:13], v[50:51], s[10:11], v[48:49]
	v_fma_f64 v[0:1], v[58:59], -0.5, v[0:1]
	v_fma_f64 v[14:15], v[20:21], s[18:19], v[14:15]
	v_add_f64 v[48:49], v[2:3], v[42:43]
	s_mov_b32 s17, 0x3fe2cf23
	s_mov_b32 s16, s10
	v_add_f64 v[8:9], v[8:9], v[16:17]
	v_fma_f64 v[38:39], v[72:73], v[38:39], -v[22:23]
	v_add_f64 v[22:23], v[52:53], v[56:57]
	v_fma_f64 v[56:57], v[50:51], s[18:19], v[0:1]
	v_add_f64 v[58:59], v[10:11], -v[40:41]
	v_add_f64 v[60:61], v[16:17], -v[32:33]
	v_fma_f64 v[14:15], v[50:51], s[16:17], v[14:15]
	v_add_f64 v[48:49], v[48:49], v[18:19]
	s_mov_b32 s8, 0x372fe950
	s_mov_b32 s9, 0x3fd3c6ef
	v_add_f64 v[8:9], v[8:9], v[32:33]
	v_add_f64 v[52:53], v[18:19], v[24:25]
	v_fma_f64 v[50:51], v[50:51], s[2:3], v[0:1]
	v_add_f64 v[32:33], v[40:41], -v[32:33]
	v_fma_f64 v[40:41], v[20:21], s[10:11], v[56:57]
	v_add_f64 v[56:57], v[58:59], v[60:61]
	v_fma_f64 v[0:1], v[22:23], s[8:9], v[12:13]
	v_fma_f64 v[12:13], v[22:23], s[8:9], v[14:15]
	v_add_f64 v[22:23], v[48:49], v[24:25]
	v_add_f64 v[48:49], v[42:43], v[34:35]
	v_fma_f64 v[52:53], v[52:53], -0.5, v[2:3]
	v_fma_f64 v[14:15], v[20:21], s[16:17], v[50:51]
	v_add_f64 v[58:59], v[10:11], -v[16:17]
	v_fma_f64 v[16:17], v[56:57], s[8:9], v[40:41]
	v_add_f64 v[40:41], v[44:45], v[28:29]
	v_add_f64 v[60:61], v[42:43], -v[18:19]
	v_add_f64 v[62:63], v[34:35], -v[24:25]
	v_fma_f64 v[2:3], v[48:49], -0.5, v[2:3]
	v_fma_f64 v[50:51], v[32:33], s[18:19], v[52:53]
	v_fma_f64 v[20:21], v[56:57], s[8:9], v[14:15]
	v_add_f64 v[10:11], v[22:23], v[34:35]
	v_add_f64 v[22:23], v[4:5], v[26:27]
	v_fma_f64 v[40:41], v[40:41], -0.5, v[4:5]
	v_add_f64 v[48:49], v[54:55], -v[38:39]
	v_fma_f64 v[52:53], v[32:33], s[2:3], v[52:53]
	v_fma_f64 v[56:57], v[58:59], s[2:3], v[2:3]
	v_add_f64 v[18:19], v[18:19], -v[42:43]
	v_add_f64 v[24:25], v[24:25], -v[34:35]
	v_fma_f64 v[2:3], v[58:59], s[18:19], v[2:3]
	v_fma_f64 v[14:15], v[58:59], s[16:17], v[50:51]
	v_add_f64 v[50:51], v[60:61], v[62:63]
	v_add_f64 v[22:23], v[22:23], v[44:45]
	v_fma_f64 v[34:35], v[48:49], s[2:3], v[40:41]
	v_add_f64 v[42:43], v[46:47], -v[30:31]
	v_add_f64 v[60:61], v[26:27], -v[44:45]
	;; [unrolled: 1-line block ×3, first 2 shown]
	v_fma_f64 v[52:53], v[58:59], s[10:11], v[52:53]
	v_add_f64 v[58:59], v[26:27], v[36:37]
	v_fma_f64 v[56:57], v[32:33], s[16:17], v[56:57]
	v_add_f64 v[24:25], v[18:19], v[24:25]
	;; [unrolled: 2-line block ×4, first 2 shown]
	v_fma_f64 v[2:3], v[50:51], s[8:9], v[14:15]
	v_fma_f64 v[58:59], v[58:59], -0.5, v[4:5]
	v_fma_f64 v[14:15], v[50:51], s[8:9], v[52:53]
	v_add_f64 v[52:53], v[54:55], v[38:39]
	v_fma_f64 v[22:23], v[24:25], s[8:9], v[32:33]
	v_add_f64 v[32:33], v[46:47], v[30:31]
	v_add_f64 v[62:63], v[6:7], v[54:55]
	v_fma_f64 v[18:19], v[24:25], s[8:9], v[56:57]
	v_fma_f64 v[24:25], v[60:61], s[8:9], v[34:35]
	;; [unrolled: 1-line block ×4, first 2 shown]
	v_add_f64 v[50:51], v[44:45], -v[26:27]
	v_add_f64 v[56:57], v[28:29], -v[36:37]
	v_fma_f64 v[32:33], v[32:33], -0.5, v[6:7]
	v_add_f64 v[26:27], v[26:27], -v[36:37]
	v_add_f64 v[28:29], v[44:45], -v[28:29]
	v_fma_f64 v[6:7], v[52:53], -0.5, v[6:7]
	v_add_f64 v[44:45], v[62:63], v[46:47]
	v_add_f64 v[4:5], v[64:65], v[36:37]
	v_fma_f64 v[34:35], v[42:43], s[16:17], v[34:35]
	v_fma_f64 v[36:37], v[48:49], s[10:11], v[40:41]
	v_add_f64 v[40:41], v[50:51], v[56:57]
	v_fma_f64 v[42:43], v[42:43], s[2:3], v[58:59]
	v_fma_f64 v[50:51], v[26:27], s[18:19], v[32:33]
	v_add_f64 v[52:53], v[54:55], -v[46:47]
	v_add_f64 v[56:57], v[38:39], -v[30:31]
	v_fma_f64 v[58:59], v[28:29], s[2:3], v[6:7]
	v_add_f64 v[46:47], v[46:47], -v[54:55]
	v_add_f64 v[54:55], v[30:31], -v[38:39]
	v_fma_f64 v[32:33], v[26:27], s[2:3], v[32:33]
	v_fma_f64 v[6:7], v[28:29], s[18:19], v[6:7]
	v_add_f64 v[30:31], v[44:45], v[30:31]
	v_fma_f64 v[42:43], v[48:49], s[16:17], v[42:43]
	v_fma_f64 v[44:45], v[28:29], s[16:17], v[50:51]
	v_add_f64 v[48:49], v[52:53], v[56:57]
	v_fma_f64 v[52:53], v[26:27], s[16:17], v[58:59]
	v_add_f64 v[46:47], v[46:47], v[54:55]
	v_fma_f64 v[50:51], v[28:29], s[10:11], v[32:33]
	v_fma_f64 v[54:55], v[26:27], s[10:11], v[6:7]
	v_add_f64 v[6:7], v[30:31], v[38:39]
	v_fma_f64 v[28:29], v[60:61], s[8:9], v[34:35]
	v_fma_f64 v[32:33], v[40:41], s[8:9], v[36:37]
	v_fma_f64 v[26:27], v[48:49], s[8:9], v[44:45]
	v_fma_f64 v[36:37], v[40:41], s[8:9], v[42:43]
	v_fma_f64 v[34:35], v[46:47], s[8:9], v[52:53]
	v_fma_f64 v[30:31], v[48:49], s[8:9], v[50:51]
	v_fma_f64 v[38:39], v[46:47], s[8:9], v[54:55]
	s_barrier
	ds_write_b128 v235, v[8:11]
	ds_write_b128 v235, v[0:3] offset:3168
	ds_write_b128 v235, v[16:19] offset:6336
	;; [unrolled: 1-line block ×9, first 2 shown]
	s_waitcnt lgkmcnt(0)
	s_barrier
	ds_read_b128 v[0:3], v235 offset:15840
	ds_read_b128 v[4:7], v235
	ds_read_b128 v[8:11], v235 offset:3168
	ds_read_b128 v[12:15], v235 offset:19008
	;; [unrolled: 1-line block ×4, first 2 shown]
	s_waitcnt lgkmcnt(5)
	v_mul_f64 v[40:41], v[102:103], v[2:3]
	v_mul_f64 v[42:43], v[102:103], v[0:1]
	s_waitcnt lgkmcnt(2)
	v_mul_f64 v[44:45], v[106:107], v[14:15]
	v_mul_f64 v[46:47], v[106:107], v[12:13]
	ds_read_b128 v[24:27], v235 offset:6336
	ds_read_b128 v[28:31], v235 offset:9504
	;; [unrolled: 1-line block ×4, first 2 shown]
	v_fma_f64 v[0:1], v[100:101], v[0:1], v[40:41]
	v_fma_f64 v[2:3], v[100:101], v[2:3], -v[42:43]
	s_waitcnt lgkmcnt(5)
	v_mul_f64 v[40:41], v[110:111], v[18:19]
	v_mul_f64 v[42:43], v[110:111], v[16:17]
	v_fma_f64 v[12:13], v[104:105], v[12:13], v[44:45]
	v_fma_f64 v[14:15], v[104:105], v[14:15], -v[46:47]
	s_waitcnt lgkmcnt(1)
	v_mul_f64 v[44:45], v[114:115], v[34:35]
	v_mul_f64 v[46:47], v[114:115], v[32:33]
	s_waitcnt lgkmcnt(0)
	v_mul_f64 v[48:49], v[118:119], v[38:39]
	v_mul_f64 v[50:51], v[118:119], v[36:37]
	v_fma_f64 v[16:17], v[108:109], v[16:17], v[40:41]
	v_fma_f64 v[18:19], v[108:109], v[18:19], -v[42:43]
	v_add_f64 v[0:1], v[4:5], -v[0:1]
	v_add_f64 v[2:3], v[6:7], -v[2:3]
	v_fma_f64 v[32:33], v[112:113], v[32:33], v[44:45]
	v_fma_f64 v[34:35], v[112:113], v[34:35], -v[46:47]
	v_fma_f64 v[36:37], v[116:117], v[36:37], v[48:49]
	v_fma_f64 v[38:39], v[116:117], v[38:39], -v[50:51]
	v_add_f64 v[12:13], v[8:9], -v[12:13]
	v_add_f64 v[14:15], v[10:11], -v[14:15]
	;; [unrolled: 1-line block ×6, first 2 shown]
	v_fma_f64 v[4:5], v[4:5], 2.0, -v[0:1]
	v_fma_f64 v[6:7], v[6:7], 2.0, -v[2:3]
	v_add_f64 v[36:37], v[20:21], -v[36:37]
	v_add_f64 v[38:39], v[22:23], -v[38:39]
	v_fma_f64 v[8:9], v[8:9], 2.0, -v[12:13]
	v_fma_f64 v[10:11], v[10:11], 2.0, -v[14:15]
	;; [unrolled: 1-line block ×8, first 2 shown]
	ds_write_b128 v235, v[4:7]
	ds_write_b128 v235, v[0:3] offset:15840
	ds_write_b128 v235, v[8:11] offset:3168
	;; [unrolled: 1-line block ×9, first 2 shown]
	s_waitcnt lgkmcnt(0)
	s_barrier
	s_and_b64 exec, exec, s[0:1]
	s_cbranch_execz .LBB0_31
; %bb.30:
	global_load_dwordx4 v[0:3], v233, s[14:15]
	global_load_dwordx4 v[4:7], v233, s[14:15] offset:2880
	v_mov_b32_e32 v8, s15
	v_add_co_u32_e32 v48, vcc, s14, v233
	s_movk_i32 s0, 0x1000
	v_addc_co_u32_e32 v49, vcc, 0, v8, vcc
	v_add_co_u32_e32 v8, vcc, s0, v48
	v_addc_co_u32_e32 v9, vcc, 0, v49, vcc
	global_load_dwordx4 v[8:11], v[8:9], off offset:1664
	s_movk_i32 s0, 0x2000
	v_add_co_u32_e32 v36, vcc, s0, v48
	v_addc_co_u32_e32 v37, vcc, 0, v49, vcc
	global_load_dwordx4 v[12:15], v[36:37], off offset:448
	ds_read_b128 v[16:19], v235
	ds_read_b128 v[20:23], v233 offset:2880
	ds_read_b128 v[24:27], v233 offset:5760
	;; [unrolled: 1-line block ×4, first 2 shown]
	global_load_dwordx4 v[36:39], v[36:37], off offset:3328
	v_mad_u64_u32 v[66:67], s[2:3], s4, v172, 0
	v_mad_u64_u32 v[64:65], s[0:1], s6, v199, 0
	s_mul_hi_u32 s6, s4, 0xb40
	s_mul_i32 s2, s4, 0xb40
	s_movk_i32 s4, 0x3000
	v_add_co_u32_e32 v40, vcc, s4, v48
	v_addc_co_u32_e32 v41, vcc, 0, v49, vcc
	global_load_dwordx4 v[40:43], v[40:41], off offset:2112
	s_movk_i32 s8, 0x4000
	v_add_co_u32_e32 v68, vcc, s8, v48
	v_addc_co_u32_e32 v69, vcc, 0, v49, vcc
	global_load_dwordx4 v[44:47], v[68:69], off offset:896
	s_movk_i32 s9, 0x5000
	v_add_co_u32_e32 v70, vcc, s9, v48
	s_movk_i32 s10, 0x6000
	v_addc_co_u32_e32 v71, vcc, 0, v49, vcc
	v_add_co_u32_e32 v72, vcc, s10, v48
	s_movk_i32 s11, 0x7000
	v_addc_co_u32_e32 v73, vcc, 0, v49, vcc
	v_add_co_u32_e32 v74, vcc, s11, v48
	v_addc_co_u32_e32 v75, vcc, 0, v49, vcc
	global_load_dwordx4 v[48:51], v[68:69], off offset:3776
	global_load_dwordx4 v[52:55], v[70:71], off offset:2560
	global_load_dwordx4 v[56:59], v[72:73], off offset:1344
	global_load_dwordx4 v[60:63], v[74:75], off offset:128
	s_mul_i32 s3, s5, 0xb40
	s_add_i32 s3, s6, s3
	v_mad_u64_u32 v[68:69], s[6:7], s7, v199, v[65:66]
	s_mov_b32 s0, 0xb37565e2
	s_mov_b32 s1, 0x3f408cab
	v_mad_u64_u32 v[69:70], s[4:5], s5, v172, v[67:68]
	v_mov_b32_e32 v65, v68
	v_lshlrev_b64 v[64:65], 4, v[64:65]
	v_mov_b32_e32 v67, v69
	v_mov_b32_e32 v76, s13
	v_lshlrev_b64 v[66:67], 4, v[66:67]
	v_add_co_u32_e32 v64, vcc, s12, v64
	v_addc_co_u32_e32 v65, vcc, v76, v65, vcc
	v_mov_b32_e32 v77, s3
	s_waitcnt vmcnt(10) lgkmcnt(4)
	v_mul_f64 v[70:71], v[18:19], v[2:3]
	v_mul_f64 v[2:3], v[16:17], v[2:3]
	s_waitcnt vmcnt(9) lgkmcnt(3)
	v_mul_f64 v[68:69], v[22:23], v[6:7]
	v_mul_f64 v[6:7], v[20:21], v[6:7]
	v_fma_f64 v[16:17], v[16:17], v[0:1], v[70:71]
	v_fma_f64 v[2:3], v[0:1], v[18:19], -v[2:3]
	v_fma_f64 v[20:21], v[20:21], v[4:5], v[68:69]
	v_fma_f64 v[6:7], v[4:5], v[22:23], -v[6:7]
	s_waitcnt vmcnt(8) lgkmcnt(2)
	v_mul_f64 v[18:19], v[26:27], v[10:11]
	v_mul_f64 v[10:11], v[24:25], v[10:11]
	;; [unrolled: 1-line block ×4, first 2 shown]
	s_waitcnt vmcnt(7) lgkmcnt(1)
	v_mul_f64 v[22:23], v[30:31], v[14:15]
	v_mul_f64 v[14:15], v[28:29], v[14:15]
	;; [unrolled: 1-line block ×4, first 2 shown]
	v_fma_f64 v[18:19], v[24:25], v[8:9], v[18:19]
	v_fma_f64 v[8:9], v[8:9], v[26:27], -v[10:11]
	v_add_co_u32_e32 v16, vcc, v64, v66
	v_addc_co_u32_e32 v17, vcc, v65, v67, vcc
	v_add_co_u32_e32 v10, vcc, s2, v16
	v_addc_co_u32_e32 v11, vcc, v17, v77, vcc
	global_store_dwordx4 v[16:17], v[0:3], off
	global_store_dwordx4 v[10:11], v[4:7], off
	v_mul_f64 v[0:1], v[18:19], s[0:1]
	v_mul_f64 v[2:3], v[8:9], s[0:1]
	v_fma_f64 v[4:5], v[28:29], v[12:13], v[22:23]
	v_fma_f64 v[6:7], v[12:13], v[30:31], -v[14:15]
	s_waitcnt vmcnt(8) lgkmcnt(0)
	v_mul_f64 v[8:9], v[34:35], v[38:39]
	v_mul_f64 v[12:13], v[32:33], v[38:39]
	v_mov_b32_e32 v16, s3
	v_add_co_u32_e32 v14, vcc, s2, v10
	v_addc_co_u32_e32 v15, vcc, v11, v16, vcc
	global_store_dwordx4 v[14:15], v[0:3], off
	v_fma_f64 v[16:17], v[32:33], v[36:37], v[8:9]
	v_mul_f64 v[0:1], v[4:5], s[0:1]
	v_mul_f64 v[2:3], v[6:7], s[0:1]
	ds_read_b128 v[4:7], v233 offset:14400
	ds_read_b128 v[8:11], v233 offset:17280
	v_fma_f64 v[12:13], v[36:37], v[34:35], -v[12:13]
	v_mov_b32_e32 v22, s3
	v_add_co_u32_e32 v14, vcc, s2, v14
	s_waitcnt vmcnt(8) lgkmcnt(1)
	v_mul_f64 v[18:19], v[6:7], v[42:43]
	v_mul_f64 v[20:21], v[4:5], v[42:43]
	v_addc_co_u32_e32 v15, vcc, v15, v22, vcc
	global_store_dwordx4 v[14:15], v[0:3], off
	v_add_co_u32_e32 v14, vcc, s2, v14
	v_mul_f64 v[0:1], v[16:17], s[0:1]
	v_mul_f64 v[2:3], v[12:13], s[0:1]
	v_fma_f64 v[4:5], v[4:5], v[40:41], v[18:19]
	v_fma_f64 v[6:7], v[40:41], v[6:7], -v[20:21]
	s_waitcnt vmcnt(8) lgkmcnt(0)
	v_mul_f64 v[12:13], v[10:11], v[46:47]
	v_mul_f64 v[16:17], v[8:9], v[46:47]
	v_addc_co_u32_e32 v15, vcc, v15, v22, vcc
	global_store_dwordx4 v[14:15], v[0:3], off
	s_nop 0
	v_mul_f64 v[0:1], v[4:5], s[0:1]
	v_mul_f64 v[2:3], v[6:7], s[0:1]
	ds_read_b128 v[4:7], v233 offset:20160
	v_fma_f64 v[12:13], v[8:9], v[44:45], v[12:13]
	v_fma_f64 v[16:17], v[44:45], v[10:11], -v[16:17]
	ds_read_b128 v[8:11], v233 offset:23040
	v_add_co_u32_e32 v14, vcc, s2, v14
	s_waitcnt vmcnt(8) lgkmcnt(1)
	v_mul_f64 v[18:19], v[6:7], v[50:51]
	v_mul_f64 v[20:21], v[4:5], v[50:51]
	v_addc_co_u32_e32 v15, vcc, v15, v22, vcc
	global_store_dwordx4 v[14:15], v[0:3], off
	v_add_co_u32_e32 v14, vcc, s2, v14
	v_mul_f64 v[0:1], v[12:13], s[0:1]
	v_mul_f64 v[2:3], v[16:17], s[0:1]
	v_fma_f64 v[4:5], v[4:5], v[48:49], v[18:19]
	v_fma_f64 v[6:7], v[48:49], v[6:7], -v[20:21]
	s_waitcnt vmcnt(8) lgkmcnt(0)
	v_mul_f64 v[12:13], v[10:11], v[54:55]
	v_mul_f64 v[16:17], v[8:9], v[54:55]
	v_addc_co_u32_e32 v15, vcc, v15, v22, vcc
	v_mov_b32_e32 v18, s3
	global_store_dwordx4 v[14:15], v[0:3], off
	v_add_co_u32_e32 v14, vcc, s2, v14
	v_mul_f64 v[0:1], v[4:5], s[0:1]
	v_mul_f64 v[2:3], v[6:7], s[0:1]
	v_fma_f64 v[12:13], v[8:9], v[52:53], v[12:13]
	v_fma_f64 v[16:17], v[52:53], v[10:11], -v[16:17]
	ds_read_b128 v[4:7], v233 offset:25920
	ds_read_b128 v[8:11], v233 offset:28800
	v_addc_co_u32_e32 v15, vcc, v15, v18, vcc
	s_waitcnt vmcnt(8) lgkmcnt(1)
	v_mul_f64 v[18:19], v[6:7], v[58:59]
	v_mul_f64 v[20:21], v[4:5], v[58:59]
	s_waitcnt vmcnt(7) lgkmcnt(0)
	v_mul_f64 v[22:23], v[10:11], v[62:63]
	v_mul_f64 v[24:25], v[8:9], v[62:63]
	global_store_dwordx4 v[14:15], v[0:3], off
	v_fma_f64 v[4:5], v[4:5], v[56:57], v[18:19]
	v_mul_f64 v[0:1], v[12:13], s[0:1]
	v_mul_f64 v[2:3], v[16:17], s[0:1]
	v_fma_f64 v[6:7], v[56:57], v[6:7], -v[20:21]
	v_fma_f64 v[8:9], v[8:9], v[60:61], v[22:23]
	v_fma_f64 v[10:11], v[60:61], v[10:11], -v[24:25]
	v_mov_b32_e32 v13, s3
	v_add_co_u32_e32 v12, vcc, s2, v14
	v_addc_co_u32_e32 v13, vcc, v15, v13, vcc
	global_store_dwordx4 v[12:13], v[0:3], off
	v_mov_b32_e32 v14, s3
	v_mul_f64 v[0:1], v[4:5], s[0:1]
	v_mul_f64 v[2:3], v[6:7], s[0:1]
	;; [unrolled: 1-line block ×4, first 2 shown]
	v_add_co_u32_e32 v8, vcc, s2, v12
	v_addc_co_u32_e32 v9, vcc, v13, v14, vcc
	global_store_dwordx4 v[8:9], v[0:3], off
	s_nop 0
	v_mov_b32_e32 v1, s3
	v_add_co_u32_e32 v0, vcc, s2, v8
	v_addc_co_u32_e32 v1, vcc, v9, v1, vcc
	global_store_dwordx4 v[0:1], v[4:7], off
.LBB0_31:
	s_endpgm
	.section	.rodata,"a",@progbits
	.p2align	6, 0x0
	.amdhsa_kernel bluestein_single_fwd_len1980_dim1_dp_op_CI_CI
		.amdhsa_group_segment_fixed_size 31680
		.amdhsa_private_segment_fixed_size 232
		.amdhsa_kernarg_size 104
		.amdhsa_user_sgpr_count 6
		.amdhsa_user_sgpr_private_segment_buffer 1
		.amdhsa_user_sgpr_dispatch_ptr 0
		.amdhsa_user_sgpr_queue_ptr 0
		.amdhsa_user_sgpr_kernarg_segment_ptr 1
		.amdhsa_user_sgpr_dispatch_id 0
		.amdhsa_user_sgpr_flat_scratch_init 0
		.amdhsa_user_sgpr_private_segment_size 0
		.amdhsa_uses_dynamic_stack 0
		.amdhsa_system_sgpr_private_segment_wavefront_offset 1
		.amdhsa_system_sgpr_workgroup_id_x 1
		.amdhsa_system_sgpr_workgroup_id_y 0
		.amdhsa_system_sgpr_workgroup_id_z 0
		.amdhsa_system_sgpr_workgroup_info 0
		.amdhsa_system_vgpr_workitem_id 0
		.amdhsa_next_free_vgpr 256
		.amdhsa_next_free_sgpr 48
		.amdhsa_reserve_vcc 1
		.amdhsa_reserve_flat_scratch 0
		.amdhsa_float_round_mode_32 0
		.amdhsa_float_round_mode_16_64 0
		.amdhsa_float_denorm_mode_32 3
		.amdhsa_float_denorm_mode_16_64 3
		.amdhsa_dx10_clamp 1
		.amdhsa_ieee_mode 1
		.amdhsa_fp16_overflow 0
		.amdhsa_exception_fp_ieee_invalid_op 0
		.amdhsa_exception_fp_denorm_src 0
		.amdhsa_exception_fp_ieee_div_zero 0
		.amdhsa_exception_fp_ieee_overflow 0
		.amdhsa_exception_fp_ieee_underflow 0
		.amdhsa_exception_fp_ieee_inexact 0
		.amdhsa_exception_int_div_zero 0
	.end_amdhsa_kernel
	.text
.Lfunc_end0:
	.size	bluestein_single_fwd_len1980_dim1_dp_op_CI_CI, .Lfunc_end0-bluestein_single_fwd_len1980_dim1_dp_op_CI_CI
                                        ; -- End function
	.section	.AMDGPU.csdata,"",@progbits
; Kernel info:
; codeLenInByte = 19660
; NumSgprs: 52
; NumVgprs: 256
; ScratchSize: 232
; MemoryBound: 0
; FloatMode: 240
; IeeeMode: 1
; LDSByteSize: 31680 bytes/workgroup (compile time only)
; SGPRBlocks: 6
; VGPRBlocks: 63
; NumSGPRsForWavesPerEU: 52
; NumVGPRsForWavesPerEU: 256
; Occupancy: 1
; WaveLimiterHint : 1
; COMPUTE_PGM_RSRC2:SCRATCH_EN: 1
; COMPUTE_PGM_RSRC2:USER_SGPR: 6
; COMPUTE_PGM_RSRC2:TRAP_HANDLER: 0
; COMPUTE_PGM_RSRC2:TGID_X_EN: 1
; COMPUTE_PGM_RSRC2:TGID_Y_EN: 0
; COMPUTE_PGM_RSRC2:TGID_Z_EN: 0
; COMPUTE_PGM_RSRC2:TIDIG_COMP_CNT: 0
	.type	__hip_cuid_dd4f92de02285fce,@object ; @__hip_cuid_dd4f92de02285fce
	.section	.bss,"aw",@nobits
	.globl	__hip_cuid_dd4f92de02285fce
__hip_cuid_dd4f92de02285fce:
	.byte	0                               ; 0x0
	.size	__hip_cuid_dd4f92de02285fce, 1

	.ident	"AMD clang version 19.0.0git (https://github.com/RadeonOpenCompute/llvm-project roc-6.4.0 25133 c7fe45cf4b819c5991fe208aaa96edf142730f1d)"
	.section	".note.GNU-stack","",@progbits
	.addrsig
	.addrsig_sym __hip_cuid_dd4f92de02285fce
	.amdgpu_metadata
---
amdhsa.kernels:
  - .args:
      - .actual_access:  read_only
        .address_space:  global
        .offset:         0
        .size:           8
        .value_kind:     global_buffer
      - .actual_access:  read_only
        .address_space:  global
        .offset:         8
        .size:           8
        .value_kind:     global_buffer
      - .actual_access:  read_only
        .address_space:  global
        .offset:         16
        .size:           8
        .value_kind:     global_buffer
      - .actual_access:  read_only
        .address_space:  global
        .offset:         24
        .size:           8
        .value_kind:     global_buffer
      - .actual_access:  read_only
        .address_space:  global
        .offset:         32
        .size:           8
        .value_kind:     global_buffer
      - .offset:         40
        .size:           8
        .value_kind:     by_value
      - .address_space:  global
        .offset:         48
        .size:           8
        .value_kind:     global_buffer
      - .address_space:  global
        .offset:         56
        .size:           8
        .value_kind:     global_buffer
      - .address_space:  global
        .offset:         64
        .size:           8
        .value_kind:     global_buffer
      - .address_space:  global
        .offset:         72
        .size:           8
        .value_kind:     global_buffer
      - .offset:         80
        .size:           4
        .value_kind:     by_value
      - .address_space:  global
        .offset:         88
        .size:           8
        .value_kind:     global_buffer
      - .address_space:  global
        .offset:         96
        .size:           8
        .value_kind:     global_buffer
    .group_segment_fixed_size: 31680
    .kernarg_segment_align: 8
    .kernarg_segment_size: 104
    .language:       OpenCL C
    .language_version:
      - 2
      - 0
    .max_flat_workgroup_size: 198
    .name:           bluestein_single_fwd_len1980_dim1_dp_op_CI_CI
    .private_segment_fixed_size: 232
    .sgpr_count:     52
    .sgpr_spill_count: 0
    .symbol:         bluestein_single_fwd_len1980_dim1_dp_op_CI_CI.kd
    .uniform_work_group_size: 1
    .uses_dynamic_stack: false
    .vgpr_count:     256
    .vgpr_spill_count: 57
    .wavefront_size: 64
amdhsa.target:   amdgcn-amd-amdhsa--gfx906
amdhsa.version:
  - 1
  - 2
...

	.end_amdgpu_metadata
